;; amdgpu-corpus repo=zjin-lcf/HeCBench kind=compiled arch=gfx1201 opt=O3
	.amdgcn_target "amdgcn-amd-amdhsa--gfx1201"
	.amdhsa_code_object_version 6
	.text
	.protected	_Z6lookupPKiPKdS0_PiS0_S2_PK6WindowPK4Poleiiiiii ; -- Begin function _Z6lookupPKiPKdS0_PiS0_S2_PK6WindowPK4Poleiiiiii
	.globl	_Z6lookupPKiPKdS0_PiS0_S2_PK6WindowPK4Poleiiiiii
	.p2align	8
	.type	_Z6lookupPKiPKdS0_PiS0_S2_PK6WindowPK4Poleiiiiii,@function
_Z6lookupPKiPKdS0_PiS0_S2_PK6WindowPK4Poleiiiiii: ; @_Z6lookupPKiPKdS0_PiS0_S2_PK6WindowPK4Poleiiiiii
; %bb.0:
	s_clause 0x1
	s_load_b32 s4, s[2:3], 0x64
	s_load_b128 s[8:11], s[2:3], 0x40
	v_and_b32_e32 v1, 0x3ff, v0
                                        ; implicit-def: $vgpr105 : SGPR spill to VGPR lane
	s_wait_kmcnt 0x0
	s_and_b32 s4, s4, 0xffff
	s_ashr_i32 s5, s8, 31
	v_writelane_b32 v105, s8, 0
	v_mad_co_u64_u32 v[16:17], null, ttmp9, s4, v[1:2]
	v_mov_b32_e32 v17, 0
	s_mov_b32 s4, s8
	v_writelane_b32 v105, s9, 1
	s_wait_alu 0xfffe
	s_delay_alu instid0(VALU_DEP_2)
	v_cmp_gt_u64_e32 vcc_lo, s[4:5], v[16:17]
	v_writelane_b32 v105, s10, 2
	v_writelane_b32 v105, s11, 3
	s_and_saveexec_b32 s4, vcc_lo
	s_cbranch_execz .LBB0_104
; %bb.1:
	s_clause 0x2
	s_load_b256 s[4:11], s[2:3], 0x0
	s_load_b128 s[24:27], s[2:3], 0x20
	s_load_b64 s[12:13], s[2:3], 0x30
	v_mov_b32_e32 v2, 0x4a2bcaa7
	v_mov_b32_e32 v6, 0x45df23cb
	s_wait_kmcnt 0x0
	v_writelane_b32 v105, s12, 4
	v_writelane_b32 v105, s13, 5
	s_load_b64 s[12:13], s[2:3], 0x50
	s_wait_kmcnt 0x0
	v_writelane_b32 v105, s12, 6
	v_writelane_b32 v105, s13, 7
	s_mov_b32 s13, 0
	s_mov_b32 s12, exec_lo
	v_cmpx_ne_u32_e32 0, v16
	s_cbranch_execz .LBB0_7
; %bb.2:
	v_mov_b32_e32 v2, 1
	v_lshlrev_b64_e32 v[4:5], 1, v[16:17]
	v_dual_mov_b32 v3, 0 :: v_dual_mov_b32 v6, 0
	v_mov_b32_e32 v7, 0
	s_mov_b32 s21, 0x26f19d38
	s_mov_b32 s20, 0xe48e2825
	s_mov_b64 s[22:23], 1
	s_branch .LBB0_4
.LBB0_3:                                ;   in Loop: Header=BB0_4 Depth=1
	s_or_b32 exec_lo, exec_lo, s14
	v_lshrrev_b64 v[8:9], 1, v[4:5]
	v_cmp_gt_u64_e32 vcc_lo, 2, v[4:5]
	s_add_nc_u64 s[14:15], s[20:21], 1
	s_mul_u64 s[20:21], s[20:21], s[20:21]
	s_mul_u64 s[22:23], s[14:15], s[22:23]
	s_delay_alu instid0(VALU_DEP_2)
	v_dual_mov_b32 v4, v8 :: v_dual_mov_b32 v5, v9
	s_wait_alu 0xfffe
	s_or_b32 s13, vcc_lo, s13
	s_wait_alu 0xfffe
	s_and_not1_b32 exec_lo, exec_lo, s13
	s_cbranch_execz .LBB0_6
.LBB0_4:                                ; =>This Inner Loop Header: Depth=1
	v_and_b32_e32 v8, 1, v4
	s_mov_b32 s14, exec_lo
	s_delay_alu instid0(VALU_DEP_1)
	v_cmpx_eq_u32_e32 1, v8
	s_cbranch_execz .LBB0_3
; %bb.5:                                ;   in Loop: Header=BB0_4 Depth=1
	v_mad_co_u64_u32 v[8:9], null, s20, v6, s[22:23]
	v_mul_lo_u32 v7, s20, v7
	v_mul_lo_u32 v6, s21, v6
	;; [unrolled: 1-line block ×4, first 2 shown]
	v_mad_co_u64_u32 v[2:3], null, s20, v2, 0
	s_delay_alu instid0(VALU_DEP_4) | instskip(SKIP_1) | instid1(VALU_DEP_3)
	v_add3_u32 v9, v6, v9, v7
	v_mov_b32_e32 v6, v8
	v_add3_u32 v3, v3, v11, v10
	s_delay_alu instid0(VALU_DEP_3)
	v_mov_b32_e32 v7, v9
	s_branch .LBB0_3
.LBB0_6:
	s_or_b32 exec_lo, exec_lo, s13
	v_mad_co_u64_u32 v[4:5], null, 0x42e, v2, v[6:7]
	s_delay_alu instid0(VALU_DEP_1) | instskip(NEXT) | instid1(VALU_DEP_2)
	v_mov_b32_e32 v2, v5
	v_mul_lo_u32 v5, 0x26f19d38, v4
	s_delay_alu instid0(VALU_DEP_2) | instskip(NEXT) | instid1(VALU_DEP_1)
	v_mad_co_u64_u32 v[2:3], null, 0x42e, v3, v[2:3]
	v_mul_lo_u32 v6, 0xe48e2825, v2
	v_mad_co_u64_u32 v[2:3], null, 0xe48e2825, v4, 1
	s_delay_alu instid0(VALU_DEP_1) | instskip(NEXT) | instid1(VALU_DEP_1)
	v_add3_u32 v3, v6, v3, v5
	v_and_b32_e32 v6, 0x7fffffff, v3
.LBB0_7:
	s_wait_alu 0xfffe
	s_or_b32 exec_lo, exec_lo, s12
	s_delay_alu instid0(VALU_DEP_3)
	v_mad_co_u64_u32 v[3:4], null, 0xe48e2825, v2, 1
	v_mul_lo_u32 v5, 0x26f19d38, v2
	v_mul_lo_u32 v7, 0xe48e2825, v6
	s_mov_b32 s12, 0x76c8b439
	s_mov_b32 s13, 0x3faa9fbe
	s_load_b64 s[2:3], s[2:3], 0x38
	s_delay_alu instid0(VALU_DEP_1) | instskip(NEXT) | instid1(VALU_DEP_4)
	v_add3_u32 v4, v7, v4, v5
	v_cvt_f64_u32_e32 v[7:8], v3
	s_delay_alu instid0(VALU_DEP_2) | instskip(NEXT) | instid1(VALU_DEP_1)
	v_and_b32_e32 v4, 0x7fffffff, v4
	v_cvt_f64_u32_e32 v[4:5], v4
	s_delay_alu instid0(VALU_DEP_1) | instskip(NEXT) | instid1(VALU_DEP_1)
	v_ldexp_f64 v[4:5], v[4:5], 32
	v_add_f64_e32 v[3:4], v[4:5], v[7:8]
	v_mov_b32_e32 v5, 1
	s_delay_alu instid0(VALU_DEP_2) | instskip(NEXT) | instid1(VALU_DEP_1)
	v_ldexp_f64 v[3:4], v[3:4], 0xffffffc1
	v_cmp_ngt_f64_e32 vcc_lo, s[12:13], v[3:4]
	s_and_saveexec_b32 s12, vcc_lo
	s_cbranch_execz .LBB0_29
; %bb.8:
	v_mov_b32_e32 v5, 2
	s_mov_b32 s14, 0x6872b021
	s_mov_b32 s15, 0x3fd4ed91
	s_mov_b32 s13, exec_lo
	v_cmpx_ngt_f64_e32 s[14:15], v[3:4]
	s_cbranch_execz .LBB0_28
; %bb.9:
	s_mov_b32 s14, 0x24dd2f1b
	s_mov_b32 s15, 0x3fdd8106
	v_mov_b32_e32 v5, 3
	s_wait_alu 0xfffe
	v_cmp_ngt_f64_e32 vcc_lo, s[14:15], v[3:4]
	s_and_saveexec_b32 s14, vcc_lo
	s_cbranch_execz .LBB0_27
; %bb.10:
	v_mov_b32_e32 v5, 4
	s_mov_b32 s20, 0x7ae147af
	s_mov_b32 s21, 0x3fe3ae14
	s_mov_b32 s15, exec_lo
	s_wait_alu 0xfffe
	v_cmpx_ngt_f64_e32 s[20:21], v[3:4]
	s_cbranch_execz .LBB0_26
; %bb.11:
	s_mov_b32 s20, 0x353f7cee
	s_mov_b32 s21, 0x3fe5ba5e
	v_mov_b32_e32 v5, 5
	s_wait_alu 0xfffe
	v_cmp_ngt_f64_e32 vcc_lo, s[20:21], v[3:4]
	s_and_saveexec_b32 s20, vcc_lo
	s_cbranch_execz .LBB0_25
; %bb.12:
	v_mov_b32_e32 v5, 6
	s_mov_b32 s22, 0x3d70a3d8
	s_mov_b32 s23, 0x3fe7d70a
	s_mov_b32 s21, exec_lo
	s_wait_alu 0xfffe
	v_cmpx_ngt_f64_e32 s[22:23], v[3:4]
	s_cbranch_execz .LBB0_24
; %bb.13:
	s_mov_b32 s22, 0x9999999a
	s_mov_b32 s23, 0x3fe99999
	v_mov_b32_e32 v5, 7
	s_wait_alu 0xfffe
	v_cmp_ngt_f64_e32 vcc_lo, s[22:23], v[3:4]
	s_and_saveexec_b32 s22, vcc_lo
	s_cbranch_execz .LBB0_23
; %bb.14:
	v_mov_b32_e32 v5, 8
	s_mov_b64 s[30:31], s[26:27]
	s_mov_b64 s[28:29], s[24:25]
	s_mov_b32 s24, 0xd0e56042
	s_mov_b32 s25, 0x3fe9db22
	s_mov_b32 s23, exec_lo
	v_cmpx_ngt_f64_e32 s[24:25], v[3:4]
	s_cbranch_execz .LBB0_22
; %bb.15:
	s_mov_b32 s24, 0x189374bd
	s_mov_b32 s25, 0x3fea5604
	v_mov_b32_e32 v5, 9
	s_wait_alu 0xfffe
	v_cmp_ngt_f64_e32 vcc_lo, s[24:25], v[3:4]
	s_and_saveexec_b32 s24, vcc_lo
	s_cbranch_execz .LBB0_21
; %bb.16:
	v_mov_b32_e32 v5, 10
	s_mov_b32 s26, 0xe560418a
	s_mov_b32 s27, 0x3feb22d0
	s_mov_b32 s25, exec_lo
	v_cmpx_ngt_f64_e32 s[26:27], v[3:4]
	s_cbranch_execz .LBB0_20
; %bb.17:
	s_mov_b32 s26, 0xdf3b645b
	s_mov_b32 s27, 0x3feb8d4f
	v_mov_b32_e32 v5, 11
	s_wait_alu 0xfffe
	v_cmp_ngt_f64_e32 vcc_lo, s[26:27], v[3:4]
	s_and_saveexec_b32 s26, vcc_lo
; %bb.18:
	v_mov_b32_e32 v5, 0
; %bb.19:
	s_wait_alu 0xfffe
	s_or_b32 exec_lo, exec_lo, s26
.LBB0_20:
	s_wait_alu 0xfffe
	s_or_b32 exec_lo, exec_lo, s25
.LBB0_21:
	s_wait_alu 0xfffe
	s_or_b32 exec_lo, exec_lo, s24
.LBB0_22:
	s_wait_alu 0xfffe
	s_or_b32 exec_lo, exec_lo, s23
	s_mov_b64 s[24:25], s[28:29]
	s_mov_b64 s[26:27], s[30:31]
.LBB0_23:
	s_wait_alu 0xfffe
	s_or_b32 exec_lo, exec_lo, s22
.LBB0_24:
	s_delay_alu instid0(SALU_CYCLE_1)
	s_or_b32 exec_lo, exec_lo, s21
.LBB0_25:
	s_wait_alu 0xfffe
	s_or_b32 exec_lo, exec_lo, s20
.LBB0_26:
	s_delay_alu instid0(SALU_CYCLE_1)
	s_or_b32 exec_lo, exec_lo, s15
.LBB0_27:
	s_wait_alu 0xfffe
	s_or_b32 exec_lo, exec_lo, s14
.LBB0_28:
	s_wait_alu 0xfffe
	s_or_b32 exec_lo, exec_lo, s13
.LBB0_29:
	s_wait_alu 0xfffe
	s_or_b32 exec_lo, exec_lo, s12
	v_dual_mov_b32 v20, 0 :: v_dual_lshlrev_b32 v3, 2, v5
	v_dual_mov_b32 v21, 0 :: v_dual_mov_b32 v24, 0
	v_dual_mov_b32 v25, 0 :: v_dual_mov_b32 v28, 0
	global_load_b32 v82, v3, s[4:5]
	v_dual_mov_b32 v29, 0 :: v_dual_mov_b32 v30, 0
	v_mov_b32_e32 v31, 0
	s_mov_b32 s104, 0
	s_mov_b32 s5, exec_lo
	s_wait_loadcnt 0x0
	v_cmpx_lt_i32_e32 0, v82
	s_cbranch_execz .LBB0_103
; %bb.30:
	v_cvt_f64_u32_e32 v[3:4], v6
	v_cvt_f64_u32_e32 v[6:7], v2
	s_wait_alu 0xfffe
	v_writelane_b32 v105, s5, 8
	s_load_b64 s[0:1], s[0:1], 0x4
	s_mov_b64 s[22:23], s[6:7]
	v_bfe_u32 v12, v0, 10, 10
	v_bfe_u32 v0, v0, 20, 10
	v_writelane_b32 v105, s24, 9
	v_mov_b32_e32 v20, 0
	v_mov_b32_e32 v28, 0
	v_dual_mov_b32 v30, 0 :: v_dual_mov_b32 v21, 0
	v_mov_b32_e32 v22, 0
	v_writelane_b32 v105, s25, 10
	v_mov_b32_e32 v31, 0
	s_mov_b32 s102, 0xb5e68a13
	s_mov_b32 s100, 0x69efb384
	;; [unrolled: 1-line block ×3, first 2 shown]
	v_writelane_b32 v105, s26, 11
	s_mov_b32 s30, 0xa595c56f
	s_mov_b32 s34, 0xa57d9582
	;; [unrolled: 1-line block ×4, first 2 shown]
	v_writelane_b32 v105, s27, 12
	s_wait_kmcnt 0x0
	s_lshr_b32 s0, s0, 16
	s_mov_b64 s[26:27], s[10:11]
	s_wait_alu 0xfffe
	s_mul_i32 s0, s0, s1
	s_mov_b64 s[24:25], s[8:9]
	v_readlane_b32 s4, v105, 6
	v_readlane_b32 s5, v105, 7
	;; [unrolled: 1-line block ×4, first 2 shown]
	s_wait_alu 0xfffe
	v_mul_lo_u32 v1, s0, v1
	v_readlane_b32 s14, v105, 2
	s_wait_alu 0xf1ff
	v_mul_lo_u32 v83, v5, s5
	v_readlane_b32 s15, v105, 3
	s_cmp_lg_u32 s13, 1
	s_mov_b32 s4, 0xbd3237f4
	v_ldexp_f64 v[2:3], v[3:4], 32
	s_cselect_b32 s0, -1, 0
	v_mad_u32_u24 v1, v12, s1, v1
	s_wait_alu 0xfffe
	v_writelane_b32 v105, s0, 13
	s_or_b32 s0, 0, 8
	s_mov_b32 s40, 0x5711927a
	s_mov_b32 s42, 0xe82d3ff0
	v_add_lshl_u32 v84, v1, v0, 6
	s_wait_alu 0xfffe
	v_writelane_b32 v105, s0, 14
	s_mov_b32 s44, 0x6ef28734
	s_mov_b32 s46, 0x6a214619
	s_mov_b32 s48, 0x8427b883
	s_mov_b32 s50, 0x8b207f05
	v_writelane_b32 v105, s20, 15
	s_mov_b32 s52, 0x57b87036
	s_mov_b32 s54, 0x19378e4f
	s_mov_b32 s56, 0x17e1913c
	s_mov_b32 s58, 0x92376b7d
	v_writelane_b32 v105, s21, 16
	s_mov_b32 s60, 0x999952cc
	s_mov_b32 s62, 0x55555523
	s_mov_b32 s64, 0xeeb562d6
	s_mov_b32 s66, 0x336a0500
	v_writelane_b32 v105, s22, 17
	s_mov_b32 s68, 0x54442d18
	s_mov_b32 s16, 0x33145c07
	s_mov_b32 s72, 0x6dc9c883
	s_mov_b32 s74, 0x33145c00
	v_writelane_b32 v105, s23, 18
	s_mov_b32 s76, 0x252049c0
	s_mov_b32 s78, 0x9037ab78
	s_mov_b32 s80, 0x46cc5e42
	s_mov_b32 s82, 0xa17f65f6
	v_writelane_b32 v105, s24, 19
	s_mov_b32 s84, 0x19f4ec90
	s_mov_b32 s86, 0x16c16967
	s_mov_b32 s88, 0x55555555
	s_mov_b32 s90, 0xb42fdfa7
	v_add_f64_e32 v[2:3], v[2:3], v[6:7]
	v_writelane_b32 v105, s25, 20
	s_mov_b32 s92, 0xf9a43bb8
	s_mov_b32 s94, 0x796cde01
	;; [unrolled: 1-line block ×4, first 2 shown]
	v_writelane_b32 v105, s26, 21
	s_mov_b32 s5, 0xbf23e260
	s_mov_b32 s103, 0x3eeba404
	;; [unrolled: 1-line block ×31, first 2 shown]
	v_ldexp_f64 v[18:19], v[2:3], 0xffffffc1
	s_mov_b32 s87, 0xbf56c16c
	s_mov_b32 s89, 0x3fa55555
	;; [unrolled: 1-line block ×10, first 2 shown]
	v_writelane_b32 v105, s27, 22
	v_mov_b32_e32 v29, 0
	s_delay_alu instid0(VALU_DEP_3) | instskip(SKIP_2) | instid1(VALU_DEP_1)
	v_cmp_gt_f64_e32 vcc_lo, 0x10000000, v[18:19]
	v_mul_f64_e32 v[26:27], v[18:19], v[18:19]
	v_cndmask_b32_e64 v2, 0, 0x100, vcc_lo
	v_ldexp_f64 v[2:3], v[18:19], v2
	s_delay_alu instid0(VALU_DEP_1) | instskip(NEXT) | instid1(TRANS32_DEP_1)
	v_rsq_f64_e32 v[6:7], v[2:3]
	v_mul_f64_e32 v[8:9], v[2:3], v[6:7]
	v_mul_f64_e32 v[6:7], 0.5, v[6:7]
	s_delay_alu instid0(VALU_DEP_1) | instskip(NEXT) | instid1(VALU_DEP_1)
	v_fma_f64 v[10:11], -v[6:7], v[8:9], 0.5
	v_fma_f64 v[8:9], v[8:9], v[10:11], v[8:9]
	v_fma_f64 v[6:7], v[6:7], v[10:11], v[6:7]
	s_delay_alu instid0(VALU_DEP_2) | instskip(NEXT) | instid1(VALU_DEP_1)
	v_fma_f64 v[10:11], -v[8:9], v[8:9], v[2:3]
	v_fma_f64 v[8:9], v[10:11], v[6:7], v[8:9]
	s_delay_alu instid0(VALU_DEP_1) | instskip(NEXT) | instid1(VALU_DEP_1)
	v_fma_f64 v[10:11], -v[8:9], v[8:9], v[2:3]
	v_fma_f64 v[4:5], v[10:11], v[6:7], v[8:9]
	v_cndmask_b32_e64 v6, 0, 0xffffff80, vcc_lo
	v_cmp_class_f64_e64 vcc_lo, v[2:3], 0x260
	s_delay_alu instid0(VALU_DEP_2) | instskip(SKIP_3) | instid1(VALU_DEP_3)
	v_ldexp_f64 v[4:5], v[4:5], v6
	v_mov_b32_e32 v24, 0
	v_mov_b32_e32 v25, 0
	s_wait_alu 0xfffd
	v_dual_cndmask_b32 v33, v5, v3 :: v_dual_cndmask_b32 v32, v4, v2
	s_branch .LBB0_34
.LBB0_31:                               ;   in Loop: Header=BB0_34 Depth=1
	s_or_b32 exec_lo, exec_lo, s14
.LBB0_32:                               ;   in Loop: Header=BB0_34 Depth=1
	s_delay_alu instid0(SALU_CYCLE_1) | instskip(NEXT) | instid1(VALU_DEP_1)
	s_or_b32 exec_lo, exec_lo, vcc_hi
	v_add_f64_e64 v[2:3], v[36:37], -v[38:39]
.LBB0_33:                               ;   in Loop: Header=BB0_34 Depth=1
	v_lshlrev_b64_e32 v[4:5], 3, v[34:35]
	v_readlane_b32 s20, v105, 15
	v_readlane_b32 s22, v105, 17
	;; [unrolled: 1-line block ×3, first 2 shown]
	s_add_co_i32 s33, s33, 1
	v_readlane_b32 s24, v105, 19
	v_readlane_b32 s25, v105, 20
	v_add_co_u32 v4, vcc_lo, s22, v4
	s_wait_alu 0xfffd
	v_add_co_ci_u32_e64 v5, null, s23, v5, vcc_lo
	s_wait_alu 0xfffe
	v_cmp_eq_u32_e32 vcc_lo, s33, v82
	v_readlane_b32 s26, v105, 21
	v_readlane_b32 s27, v105, 22
	global_load_b64 v[4:5], v[4:5], off
	v_readlane_b32 s21, v105, 16
	s_or_b32 s104, vcc_lo, s104
	s_wait_loadcnt 0x0
	v_fma_f64 v[30:31], v[36:37], v[4:5], v[30:31]
	v_fma_f64 v[28:29], v[38:39], v[4:5], v[28:29]
	;; [unrolled: 1-line block ×4, first 2 shown]
	s_and_not1_b32 exec_lo, exec_lo, s104
	s_cbranch_execz .LBB0_102
.LBB0_34:                               ; =>This Loop Header: Depth=1
                                        ;     Child Loop BB0_37 Depth 2
                                        ;     Child Loop BB0_59 Depth 2
	;; [unrolled: 1-line block ×4, first 2 shown]
                                        ;       Child Loop BB0_100 Depth 3
	v_add_nc_u32_e32 v34, s33, v83
	v_readlane_b32 s20, v105, 9
	v_readlane_b32 s21, v105, 10
	;; [unrolled: 1-line block ×4, first 2 shown]
	v_ashrrev_i32_e32 v35, 31, v34
	v_readlane_b32 s0, v105, 13
	v_readlane_b32 s22, v105, 11
	;; [unrolled: 1-line block ×3, first 2 shown]
	s_mov_b32 s26, 0xa049097
	v_lshlrev_b64_e32 v[0:1], 2, v[34:35]
	s_mov_b32 s27, 0xc005cc47
	v_readlane_b32 s9, v105, 1
	v_readlane_b32 s11, v105, 3
                                        ; implicit-def: $vgpr38_vgpr39
                                        ; implicit-def: $vgpr36_vgpr37
	s_wait_alu 0xf1ff
	s_delay_alu instid0(VALU_DEP_3)
	v_add_co_u32 v0, vcc_lo, s24, v0
	s_wait_alu 0xfffd
	v_add_co_ci_u32_e64 v1, null, s25, v1, vcc_lo
	s_mov_b32 s24, 0x7cdfff0d
	s_mov_b32 s25, 0x3fe065c7
	global_load_b32 v4, v[0:1], off
	s_wait_loadcnt 0x0
	v_ashrrev_i32_e32 v5, 31, v4
	s_delay_alu instid0(VALU_DEP_1) | instskip(NEXT) | instid1(VALU_DEP_1)
	v_lshlrev_b64_e32 v[0:1], 2, v[4:5]
	v_add_co_u32 v0, vcc_lo, s20, v0
	s_wait_alu 0xfffd
	s_delay_alu instid0(VALU_DEP_2) | instskip(SKIP_3) | instid1(VALU_DEP_1)
	v_add_co_ci_u32_e64 v1, null, s21, v1, vcc_lo
	global_load_b32 v40, v[0:1], off
	s_wait_loadcnt 0x0
	v_cvt_f64_i32_e32 v[0:1], v40
	v_div_scale_f64 v[2:3], null, v[0:1], v[0:1], 1.0
	v_div_scale_f64 v[9:10], vcc_lo, 1.0, v[0:1], 1.0
	s_delay_alu instid0(VALU_DEP_2) | instskip(NEXT) | instid1(TRANS32_DEP_1)
	v_rcp_f64_e32 v[5:6], v[2:3]
	v_fma_f64 v[7:8], -v[2:3], v[5:6], 1.0
	s_delay_alu instid0(VALU_DEP_1) | instskip(NEXT) | instid1(VALU_DEP_1)
	v_fma_f64 v[5:6], v[5:6], v[7:8], v[5:6]
	v_fma_f64 v[7:8], -v[2:3], v[5:6], 1.0
	s_delay_alu instid0(VALU_DEP_1) | instskip(NEXT) | instid1(VALU_DEP_1)
	v_fma_f64 v[5:6], v[5:6], v[7:8], v[5:6]
	v_mul_f64_e32 v[7:8], v[9:10], v[5:6]
	s_delay_alu instid0(VALU_DEP_1) | instskip(SKIP_1) | instid1(VALU_DEP_1)
	v_fma_f64 v[2:3], -v[2:3], v[7:8], v[9:10]
	s_wait_alu 0xfffd
	v_div_fmas_f64 v[2:3], v[2:3], v[5:6], v[7:8]
	s_delay_alu instid0(VALU_DEP_1) | instskip(NEXT) | instid1(VALU_DEP_1)
	v_div_fixup_f64 v[0:1], v[2:3], v[0:1], 1.0
	v_div_scale_f64 v[2:3], null, v[0:1], v[0:1], v[18:19]
	s_delay_alu instid0(VALU_DEP_1) | instskip(NEXT) | instid1(TRANS32_DEP_1)
	v_rcp_f64_e32 v[5:6], v[2:3]
	v_fma_f64 v[7:8], -v[2:3], v[5:6], 1.0
	s_delay_alu instid0(VALU_DEP_1) | instskip(NEXT) | instid1(VALU_DEP_1)
	v_fma_f64 v[5:6], v[5:6], v[7:8], v[5:6]
	v_fma_f64 v[7:8], -v[2:3], v[5:6], 1.0
	s_delay_alu instid0(VALU_DEP_1) | instskip(SKIP_1) | instid1(VALU_DEP_1)
	v_fma_f64 v[5:6], v[5:6], v[7:8], v[5:6]
	v_div_scale_f64 v[7:8], vcc_lo, v[18:19], v[0:1], v[18:19]
	v_mul_f64_e32 v[9:10], v[7:8], v[5:6]
	s_delay_alu instid0(VALU_DEP_1) | instskip(SKIP_1) | instid1(VALU_DEP_1)
	v_fma_f64 v[2:3], -v[2:3], v[9:10], v[7:8]
	s_wait_alu 0xfffd
	v_div_fmas_f64 v[2:3], v[2:3], v[5:6], v[9:10]
	v_mul_lo_u32 v6, v4, s10
	s_and_b32 vcc_lo, exec_lo, s0
	s_mov_b32 s0, -1
	s_delay_alu instid0(VALU_DEP_1) | instskip(NEXT) | instid1(VALU_DEP_3)
	v_ashrrev_i32_e32 v7, 31, v6
	v_div_fixup_f64 v[0:1], v[2:3], v[0:1], v[18:19]
                                        ; implicit-def: $vgpr2_vgpr3
	s_delay_alu instid0(VALU_DEP_1)
	v_cvt_i32_f64_e32 v5, v[0:1]
                                        ; implicit-def: $vgpr0_vgpr1
	s_wait_alu 0xfffe
	s_cbranch_vccz .LBB0_62
; %bb.35:                               ;   in Loop: Header=BB0_34 Depth=1
	v_lshlrev_b64_e32 v[0:1], 3, v[6:7]
	v_mov_b32_e32 v41, v84
	s_mov_b32 s14, 0
	s_delay_alu instid0(VALU_DEP_2) | instskip(SKIP_1) | instid1(VALU_DEP_3)
	v_add_co_u32 v0, vcc_lo, s22, v0
	s_wait_alu 0xfffd
	v_add_co_ci_u32_e64 v1, null, s23, v1, vcc_lo
	s_branch .LBB0_37
.LBB0_36:                               ;   in Loop: Header=BB0_37 Depth=2
	s_wait_alu 0xfffe
	s_or_b32 exec_lo, exec_lo, s12
	v_mul_f64_e32 v[8:9], v[36:37], v[36:37]
	s_mov_b32 s12, s88
	v_lshlrev_b32_e32 v2, 30, v23
	s_add_co_i32 s14, s14, 1
	s_wait_alu 0xfffe
	s_cmp_lg_u32 s14, 4
	s_delay_alu instid0(VALU_DEP_1) | instskip(SKIP_1) | instid1(VALU_DEP_2)
	v_xor_b32_e32 v2, v2, v3
	v_and_b32_e32 v3, 1, v23
	v_and_b32_e32 v2, 0x80000000, v2
	s_delay_alu instid0(VALU_DEP_2) | instskip(SKIP_3) | instid1(VALU_DEP_3)
	v_cmp_eq_u32_e64 s0, 0, v3
	v_mul_f64_e32 v[10:11], 0.5, v[8:9]
	v_fma_f64 v[12:13], v[8:9], s[92:93], s[90:91]
	v_mul_f64_e64 v[44:45], v[36:37], -v[8:9]
	v_add_f64_e64 v[14:15], -v[10:11], 1.0
	s_delay_alu instid0(VALU_DEP_3) | instskip(NEXT) | instid1(VALU_DEP_2)
	v_fma_f64 v[12:13], v[8:9], v[12:13], s[94:95]
	v_add_f64_e64 v[42:43], -v[14:15], 1.0
	s_delay_alu instid0(VALU_DEP_2) | instskip(NEXT) | instid1(VALU_DEP_2)
	v_fma_f64 v[12:13], v[8:9], v[12:13], s[96:97]
	v_add_f64_e64 v[10:11], v[42:43], -v[10:11]
	v_mul_f64_e32 v[42:43], 0.5, v[38:39]
	s_delay_alu instid0(VALU_DEP_3) | instskip(NEXT) | instid1(VALU_DEP_3)
	v_fma_f64 v[12:13], v[8:9], v[12:13], s[98:99]
	v_fma_f64 v[10:11], v[36:37], -v[38:39], v[10:11]
	s_delay_alu instid0(VALU_DEP_2) | instskip(NEXT) | instid1(VALU_DEP_1)
	v_fma_f64 v[12:13], v[44:45], v[12:13], v[42:43]
	v_fma_f64 v[12:13], v[8:9], v[12:13], -v[38:39]
	v_fma_f64 v[38:39], v[8:9], s[80:81], s[78:79]
	s_delay_alu instid0(VALU_DEP_1) | instskip(NEXT) | instid1(VALU_DEP_1)
	v_fma_f64 v[38:39], v[8:9], v[38:39], s[82:83]
	v_fma_f64 v[38:39], v[8:9], v[38:39], s[84:85]
	s_delay_alu instid0(VALU_DEP_1) | instskip(NEXT) | instid1(VALU_DEP_1)
	v_fma_f64 v[38:39], v[8:9], v[38:39], s[86:87]
	v_fma_f64 v[38:39], v[8:9], v[38:39], s[88:89]
	v_mul_f64_e32 v[8:9], v[8:9], v[8:9]
	s_delay_alu instid0(VALU_DEP_1) | instskip(SKIP_1) | instid1(VALU_DEP_2)
	v_fma_f64 v[8:9], v[8:9], v[38:39], v[10:11]
	v_fma_f64 v[10:11], v[44:45], s[12:13], v[12:13]
	v_add_f64_e32 v[8:9], v[14:15], v[8:9]
	s_delay_alu instid0(VALU_DEP_2) | instskip(SKIP_1) | instid1(VALU_DEP_1)
	v_add_f64_e64 v[10:11], v[36:37], -v[10:11]
	s_wait_alu 0xf1ff
	v_cndmask_b32_e64 v3, v9, v11, s0
	s_delay_alu instid0(VALU_DEP_2) | instskip(NEXT) | instid1(VALU_DEP_2)
	v_cndmask_b32_e64 v8, v8, v10, s0
	v_xor_b32_e32 v3, v3, v2
	s_delay_alu instid0(VALU_DEP_2) | instskip(NEXT) | instid1(VALU_DEP_2)
	v_cndmask_b32_e32 v2, 0, v8, vcc_lo
	v_cndmask_b32_e64 v3, 0xfff80000, -v3, vcc_lo
	v_add_co_u32 v0, vcc_lo, v0, 8
	s_wait_alu 0xfffd
	v_add_co_ci_u32_e64 v1, null, 0, v1, vcc_lo
	ds_store_b64 v41, v[2:3] offset:8
	v_add_nc_u32_e32 v41, 16, v41
	s_cbranch_scc0 .LBB0_57
.LBB0_37:                               ;   Parent Loop BB0_34 Depth=1
                                        ; =>  This Inner Loop Header: Depth=2
	global_load_b64 v[2:3], v[0:1], off
	s_wait_alu 0xfffe
	s_cmp_lt_i32 s14, 2
	s_mov_b32 s0, -1
                                        ; implicit-def: $vgpr8_vgpr9
	s_wait_loadcnt 0x0
	v_mul_f64_e32 v[2:3], v[32:33], v[2:3]
	s_cbranch_scc1 .LBB0_45
; %bb.38:                               ;   in Loop: Header=BB0_37 Depth=2
	s_cmp_lt_i32 s14, 3
                                        ; implicit-def: $vgpr8_vgpr9
	s_cbranch_scc1 .LBB0_42
; %bb.39:                               ;   in Loop: Header=BB0_37 Depth=2
	s_delay_alu instid0(VALU_DEP_1)
	v_dual_mov_b32 v9, v3 :: v_dual_mov_b32 v8, v2
	s_cmp_eq_u32 s14, 3
	s_cbranch_scc0 .LBB0_41
; %bb.40:                               ;   in Loop: Header=BB0_37 Depth=2
	v_fma_f64 v[8:9], -v[2:3], v[2:3], 0x402e0000
	v_mul_f64_e32 v[10:11], 0xc0180000, v[2:3]
	s_delay_alu instid0(VALU_DEP_2) | instskip(NEXT) | instid1(VALU_DEP_2)
	v_mul_f64_e32 v[8:9], v[2:3], v[8:9]
	v_fma_f64 v[10:11], v[2:3], v[10:11], 0x402e0000
	s_delay_alu instid0(VALU_DEP_1) | instskip(SKIP_1) | instid1(VALU_DEP_2)
	v_div_scale_f64 v[12:13], null, v[10:11], v[10:11], v[8:9]
	v_div_scale_f64 v[38:39], vcc_lo, v[8:9], v[10:11], v[8:9]
	v_rcp_f64_e32 v[14:15], v[12:13]
	s_delay_alu instid0(TRANS32_DEP_1) | instskip(NEXT) | instid1(VALU_DEP_1)
	v_fma_f64 v[36:37], -v[12:13], v[14:15], 1.0
	v_fma_f64 v[14:15], v[14:15], v[36:37], v[14:15]
	s_delay_alu instid0(VALU_DEP_1) | instskip(NEXT) | instid1(VALU_DEP_1)
	v_fma_f64 v[36:37], -v[12:13], v[14:15], 1.0
	v_fma_f64 v[14:15], v[14:15], v[36:37], v[14:15]
	s_delay_alu instid0(VALU_DEP_1) | instskip(NEXT) | instid1(VALU_DEP_1)
	v_mul_f64_e32 v[36:37], v[38:39], v[14:15]
	v_fma_f64 v[12:13], -v[12:13], v[36:37], v[38:39]
	s_wait_alu 0xfffd
	s_delay_alu instid0(VALU_DEP_1) | instskip(NEXT) | instid1(VALU_DEP_1)
	v_div_fmas_f64 v[12:13], v[12:13], v[14:15], v[36:37]
	v_div_fixup_f64 v[8:9], v[12:13], v[10:11], v[8:9]
	s_delay_alu instid0(VALU_DEP_1) | instskip(NEXT) | instid1(VALU_DEP_1)
	v_dual_mov_b32 v10, v8 :: v_dual_and_b32 v11, 0x7fffffff, v9
	v_div_scale_f64 v[12:13], null, v[10:11], v[10:11], 1.0
	v_div_scale_f64 v[38:39], vcc_lo, 1.0, v[10:11], 1.0
	s_delay_alu instid0(VALU_DEP_2) | instskip(NEXT) | instid1(TRANS32_DEP_1)
	v_rcp_f64_e32 v[14:15], v[12:13]
	v_fma_f64 v[36:37], -v[12:13], v[14:15], 1.0
	s_delay_alu instid0(VALU_DEP_1) | instskip(NEXT) | instid1(VALU_DEP_1)
	v_fma_f64 v[14:15], v[14:15], v[36:37], v[14:15]
	v_fma_f64 v[36:37], -v[12:13], v[14:15], 1.0
	s_delay_alu instid0(VALU_DEP_1) | instskip(NEXT) | instid1(VALU_DEP_1)
	v_fma_f64 v[14:15], v[14:15], v[36:37], v[14:15]
	v_mul_f64_e32 v[36:37], v[38:39], v[14:15]
	s_delay_alu instid0(VALU_DEP_1) | instskip(SKIP_1) | instid1(VALU_DEP_1)
	v_fma_f64 v[12:13], -v[12:13], v[36:37], v[38:39]
	s_wait_alu 0xfffd
	v_div_fmas_f64 v[12:13], v[12:13], v[14:15], v[36:37]
	v_cmp_gt_f64_e64 vcc_lo, |v[8:9]|, 1.0
	s_delay_alu instid0(VALU_DEP_2) | instskip(SKIP_1) | instid1(VALU_DEP_1)
	v_div_fixup_f64 v[12:13], v[12:13], |v[8:9]|, 1.0
	s_wait_alu 0xfffd
	v_dual_cndmask_b32 v11, v11, v13 :: v_dual_cndmask_b32 v10, v8, v12
	s_delay_alu instid0(VALU_DEP_1) | instskip(NEXT) | instid1(VALU_DEP_1)
	v_mul_f64_e32 v[12:13], v[10:11], v[10:11]
	v_fma_f64 v[14:15], v[12:13], s[102:103], s[4:5]
	s_delay_alu instid0(VALU_DEP_1) | instskip(NEXT) | instid1(VALU_DEP_1)
	v_fma_f64 v[14:15], v[12:13], v[14:15], s[100:101]
	v_fma_f64 v[14:15], v[12:13], v[14:15], s[28:29]
	s_delay_alu instid0(VALU_DEP_1) | instskip(NEXT) | instid1(VALU_DEP_1)
	v_fma_f64 v[14:15], v[12:13], v[14:15], s[30:31]
	;; [unrolled: 3-line block ×9, first 2 shown]
	v_fma_f64 v[14:15], v[12:13], v[14:15], s[62:63]
	s_delay_alu instid0(VALU_DEP_1) | instskip(NEXT) | instid1(VALU_DEP_1)
	v_mul_f64_e32 v[12:13], v[12:13], v[14:15]
	v_fma_f64 v[10:11], v[10:11], v[12:13], v[10:11]
	s_delay_alu instid0(VALU_DEP_1) | instskip(NEXT) | instid1(VALU_DEP_1)
	v_fma_f64 v[12:13], s[66:67], s[64:65], -v[10:11]
	v_dual_cndmask_b32 v11, v11, v13 :: v_dual_cndmask_b32 v8, v10, v12
	s_delay_alu instid0(VALU_DEP_1) | instskip(NEXT) | instid1(VALU_DEP_1)
	v_bfi_b32 v9, 0x7fffffff, v11, v9
	v_add_f64_e64 v[8:9], v[2:3], -v[8:9]
.LBB0_41:                               ;   in Loop: Header=BB0_37 Depth=2
	s_mov_b32 s0, 0
.LBB0_42:                               ;   in Loop: Header=BB0_37 Depth=2
	s_wait_alu 0xfffe
	s_and_not1_b32 vcc_lo, exec_lo, s0
	s_wait_alu 0xfffe
	s_cbranch_vccnz .LBB0_44
; %bb.43:                               ;   in Loop: Header=BB0_37 Depth=2
	s_delay_alu instid0(VALU_DEP_1) | instskip(SKIP_1) | instid1(VALU_DEP_1)
	v_mul_f64_e32 v[8:9], 0x40080000, v[2:3]
	v_fma_f64 v[10:11], -v[2:3], v[2:3], 0x40080000
	v_div_scale_f64 v[12:13], null, v[10:11], v[10:11], v[8:9]
	v_div_scale_f64 v[38:39], vcc_lo, v[8:9], v[10:11], v[8:9]
	s_delay_alu instid0(VALU_DEP_2) | instskip(NEXT) | instid1(TRANS32_DEP_1)
	v_rcp_f64_e32 v[14:15], v[12:13]
	v_fma_f64 v[36:37], -v[12:13], v[14:15], 1.0
	s_delay_alu instid0(VALU_DEP_1) | instskip(NEXT) | instid1(VALU_DEP_1)
	v_fma_f64 v[14:15], v[14:15], v[36:37], v[14:15]
	v_fma_f64 v[36:37], -v[12:13], v[14:15], 1.0
	s_delay_alu instid0(VALU_DEP_1) | instskip(NEXT) | instid1(VALU_DEP_1)
	v_fma_f64 v[14:15], v[14:15], v[36:37], v[14:15]
	v_mul_f64_e32 v[36:37], v[38:39], v[14:15]
	s_delay_alu instid0(VALU_DEP_1) | instskip(SKIP_1) | instid1(VALU_DEP_1)
	v_fma_f64 v[12:13], -v[12:13], v[36:37], v[38:39]
	s_wait_alu 0xfffd
	v_div_fmas_f64 v[12:13], v[12:13], v[14:15], v[36:37]
	s_delay_alu instid0(VALU_DEP_1) | instskip(NEXT) | instid1(VALU_DEP_1)
	v_div_fixup_f64 v[8:9], v[12:13], v[10:11], v[8:9]
	v_dual_mov_b32 v10, v8 :: v_dual_and_b32 v11, 0x7fffffff, v9
	s_delay_alu instid0(VALU_DEP_1) | instskip(SKIP_1) | instid1(VALU_DEP_2)
	v_div_scale_f64 v[12:13], null, v[10:11], v[10:11], 1.0
	v_div_scale_f64 v[38:39], vcc_lo, 1.0, v[10:11], 1.0
	v_rcp_f64_e32 v[14:15], v[12:13]
	s_delay_alu instid0(TRANS32_DEP_1) | instskip(NEXT) | instid1(VALU_DEP_1)
	v_fma_f64 v[36:37], -v[12:13], v[14:15], 1.0
	v_fma_f64 v[14:15], v[14:15], v[36:37], v[14:15]
	s_delay_alu instid0(VALU_DEP_1) | instskip(NEXT) | instid1(VALU_DEP_1)
	v_fma_f64 v[36:37], -v[12:13], v[14:15], 1.0
	v_fma_f64 v[14:15], v[14:15], v[36:37], v[14:15]
	s_delay_alu instid0(VALU_DEP_1) | instskip(NEXT) | instid1(VALU_DEP_1)
	v_mul_f64_e32 v[36:37], v[38:39], v[14:15]
	v_fma_f64 v[12:13], -v[12:13], v[36:37], v[38:39]
	s_wait_alu 0xfffd
	s_delay_alu instid0(VALU_DEP_1) | instskip(SKIP_1) | instid1(VALU_DEP_2)
	v_div_fmas_f64 v[12:13], v[12:13], v[14:15], v[36:37]
	v_cmp_gt_f64_e64 vcc_lo, |v[8:9]|, 1.0
	v_div_fixup_f64 v[12:13], v[12:13], |v[8:9]|, 1.0
	s_wait_alu 0xfffd
	s_delay_alu instid0(VALU_DEP_1) | instskip(NEXT) | instid1(VALU_DEP_1)
	v_dual_cndmask_b32 v11, v11, v13 :: v_dual_cndmask_b32 v10, v8, v12
	v_mul_f64_e32 v[12:13], v[10:11], v[10:11]
	s_delay_alu instid0(VALU_DEP_1) | instskip(NEXT) | instid1(VALU_DEP_1)
	v_fma_f64 v[14:15], v[12:13], s[102:103], s[4:5]
	v_fma_f64 v[14:15], v[12:13], v[14:15], s[100:101]
	s_delay_alu instid0(VALU_DEP_1) | instskip(NEXT) | instid1(VALU_DEP_1)
	v_fma_f64 v[14:15], v[12:13], v[14:15], s[28:29]
	v_fma_f64 v[14:15], v[12:13], v[14:15], s[30:31]
	;; [unrolled: 3-line block ×9, first 2 shown]
	s_delay_alu instid0(VALU_DEP_1) | instskip(NEXT) | instid1(VALU_DEP_1)
	v_fma_f64 v[14:15], v[12:13], v[14:15], s[62:63]
	v_mul_f64_e32 v[12:13], v[12:13], v[14:15]
	s_delay_alu instid0(VALU_DEP_1) | instskip(NEXT) | instid1(VALU_DEP_1)
	v_fma_f64 v[10:11], v[10:11], v[12:13], v[10:11]
	v_fma_f64 v[12:13], s[66:67], s[64:65], -v[10:11]
	s_delay_alu instid0(VALU_DEP_1) | instskip(NEXT) | instid1(VALU_DEP_1)
	v_dual_cndmask_b32 v11, v11, v13 :: v_dual_cndmask_b32 v8, v10, v12
	v_bfi_b32 v9, 0x7fffffff, v11, v9
	s_delay_alu instid0(VALU_DEP_1)
	v_add_f64_e64 v[8:9], v[2:3], -v[8:9]
.LBB0_44:                               ;   in Loop: Header=BB0_37 Depth=2
	s_mov_b32 s0, 0
.LBB0_45:                               ;   in Loop: Header=BB0_37 Depth=2
	s_wait_alu 0xfffe
	s_and_not1_b32 vcc_lo, exec_lo, s0
	s_wait_alu 0xfffe
	s_cbranch_vccnz .LBB0_49
; %bb.46:                               ;   in Loop: Header=BB0_37 Depth=2
	s_cmp_lg_u32 s14, 1
	s_cbranch_scc1 .LBB0_48
; %bb.47:                               ;   in Loop: Header=BB0_37 Depth=2
	s_delay_alu instid0(VALU_DEP_1) | instskip(NEXT) | instid1(VALU_DEP_1)
	v_dual_mov_b32 v8, v2 :: v_dual_and_b32 v9, 0x7fffffff, v3
	v_div_scale_f64 v[10:11], null, v[8:9], v[8:9], 1.0
	v_div_scale_f64 v[36:37], vcc_lo, 1.0, v[8:9], 1.0
	s_delay_alu instid0(VALU_DEP_2) | instskip(NEXT) | instid1(TRANS32_DEP_1)
	v_rcp_f64_e32 v[12:13], v[10:11]
	v_fma_f64 v[14:15], -v[10:11], v[12:13], 1.0
	s_delay_alu instid0(VALU_DEP_1) | instskip(NEXT) | instid1(VALU_DEP_1)
	v_fma_f64 v[12:13], v[12:13], v[14:15], v[12:13]
	v_fma_f64 v[14:15], -v[10:11], v[12:13], 1.0
	s_delay_alu instid0(VALU_DEP_1) | instskip(NEXT) | instid1(VALU_DEP_1)
	v_fma_f64 v[12:13], v[12:13], v[14:15], v[12:13]
	v_mul_f64_e32 v[14:15], v[36:37], v[12:13]
	s_delay_alu instid0(VALU_DEP_1) | instskip(SKIP_1) | instid1(VALU_DEP_1)
	v_fma_f64 v[10:11], -v[10:11], v[14:15], v[36:37]
	s_wait_alu 0xfffd
	v_div_fmas_f64 v[10:11], v[10:11], v[12:13], v[14:15]
	v_cmp_gt_f64_e64 vcc_lo, |v[2:3]|, 1.0
	s_delay_alu instid0(VALU_DEP_2) | instskip(SKIP_1) | instid1(VALU_DEP_1)
	v_div_fixup_f64 v[10:11], v[10:11], |v[2:3]|, 1.0
	s_wait_alu 0xfffd
	v_dual_cndmask_b32 v9, v9, v11 :: v_dual_cndmask_b32 v8, v2, v10
	s_delay_alu instid0(VALU_DEP_1) | instskip(NEXT) | instid1(VALU_DEP_1)
	v_mul_f64_e32 v[10:11], v[8:9], v[8:9]
	v_fma_f64 v[12:13], v[10:11], s[102:103], s[4:5]
	s_delay_alu instid0(VALU_DEP_1) | instskip(NEXT) | instid1(VALU_DEP_1)
	v_fma_f64 v[12:13], v[10:11], v[12:13], s[100:101]
	v_fma_f64 v[12:13], v[10:11], v[12:13], s[28:29]
	s_delay_alu instid0(VALU_DEP_1) | instskip(NEXT) | instid1(VALU_DEP_1)
	v_fma_f64 v[12:13], v[10:11], v[12:13], s[30:31]
	v_fma_f64 v[12:13], v[10:11], v[12:13], s[34:35]
	s_delay_alu instid0(VALU_DEP_1) | instskip(NEXT) | instid1(VALU_DEP_1)
	v_fma_f64 v[12:13], v[10:11], v[12:13], s[36:37]
	v_fma_f64 v[12:13], v[10:11], v[12:13], s[38:39]
	s_delay_alu instid0(VALU_DEP_1) | instskip(NEXT) | instid1(VALU_DEP_1)
	v_fma_f64 v[12:13], v[10:11], v[12:13], s[40:41]
	v_fma_f64 v[12:13], v[10:11], v[12:13], s[42:43]
	s_delay_alu instid0(VALU_DEP_1) | instskip(NEXT) | instid1(VALU_DEP_1)
	v_fma_f64 v[12:13], v[10:11], v[12:13], s[44:45]
	v_fma_f64 v[12:13], v[10:11], v[12:13], s[46:47]
	s_delay_alu instid0(VALU_DEP_1) | instskip(NEXT) | instid1(VALU_DEP_1)
	v_fma_f64 v[12:13], v[10:11], v[12:13], s[48:49]
	v_fma_f64 v[12:13], v[10:11], v[12:13], s[50:51]
	s_delay_alu instid0(VALU_DEP_1) | instskip(NEXT) | instid1(VALU_DEP_1)
	v_fma_f64 v[12:13], v[10:11], v[12:13], s[52:53]
	v_fma_f64 v[12:13], v[10:11], v[12:13], s[54:55]
	s_delay_alu instid0(VALU_DEP_1) | instskip(NEXT) | instid1(VALU_DEP_1)
	v_fma_f64 v[12:13], v[10:11], v[12:13], s[56:57]
	v_fma_f64 v[12:13], v[10:11], v[12:13], s[58:59]
	s_delay_alu instid0(VALU_DEP_1) | instskip(NEXT) | instid1(VALU_DEP_1)
	v_fma_f64 v[12:13], v[10:11], v[12:13], s[60:61]
	v_fma_f64 v[12:13], v[10:11], v[12:13], s[62:63]
	s_delay_alu instid0(VALU_DEP_1) | instskip(NEXT) | instid1(VALU_DEP_1)
	v_mul_f64_e32 v[10:11], v[10:11], v[12:13]
	v_fma_f64 v[8:9], v[8:9], v[10:11], v[8:9]
	s_delay_alu instid0(VALU_DEP_1) | instskip(NEXT) | instid1(VALU_DEP_1)
	v_fma_f64 v[10:11], s[66:67], s[64:65], -v[8:9]
	v_dual_cndmask_b32 v9, v9, v11 :: v_dual_cndmask_b32 v8, v8, v10
	s_delay_alu instid0(VALU_DEP_1) | instskip(NEXT) | instid1(VALU_DEP_1)
	v_bfi_b32 v9, 0x7fffffff, v9, v3
	v_add_f64_e32 v[2:3], v[2:3], v[8:9]
.LBB0_48:                               ;   in Loop: Header=BB0_37 Depth=2
	s_delay_alu instid0(VALU_DEP_1)
	v_dual_mov_b32 v9, v3 :: v_dual_mov_b32 v8, v2
.LBB0_49:                               ;   in Loop: Header=BB0_37 Depth=2
	s_delay_alu instid0(VALU_DEP_1) | instskip(NEXT) | instid1(VALU_DEP_1)
	v_add_f64_e32 v[2:3], v[8:9], v[8:9]
                                        ; implicit-def: $vgpr23
                                        ; implicit-def: $vgpr36_vgpr37
                                        ; implicit-def: $vgpr38_vgpr39
	v_cmp_ngt_f64_e64 s15, 0x41d00000, |v[2:3]|
	v_trig_preop_f64 v[12:13], |v[2:3]|, 0
	v_trig_preop_f64 v[8:9], |v[2:3]|, 1
	v_ldexp_f64 v[14:15], |v[2:3]|, 0xffffff80
	v_trig_preop_f64 v[10:11], |v[2:3]|, 2
	v_and_b32_e32 v42, 0x7fffffff, v3
	s_and_saveexec_b32 s0, s15
	s_wait_alu 0xfffe
	s_xor_b32 s0, exec_lo, s0
	s_cbranch_execz .LBB0_51
; %bb.50:                               ;   in Loop: Header=BB0_37 Depth=2
	v_cmp_le_f64_e64 vcc_lo, 0x7b000000, |v[2:3]|
	s_wait_alu 0xfffd
	s_delay_alu instid0(VALU_DEP_4) | instskip(SKIP_1) | instid1(VALU_DEP_1)
	v_cndmask_b32_e32 v37, v42, v15, vcc_lo
	v_cndmask_b32_e32 v36, v2, v14, vcc_lo
	v_mul_f64_e32 v[38:39], v[12:13], v[36:37]
	v_mul_f64_e32 v[43:44], v[8:9], v[36:37]
	s_delay_alu instid0(VALU_DEP_2) | instskip(NEXT) | instid1(VALU_DEP_1)
	v_fma_f64 v[45:46], v[12:13], v[36:37], -v[38:39]
	v_add_f64_e32 v[47:48], v[43:44], v[45:46]
	s_delay_alu instid0(VALU_DEP_1) | instskip(NEXT) | instid1(VALU_DEP_1)
	v_add_f64_e64 v[49:50], v[47:48], -v[43:44]
	v_add_f64_e64 v[45:46], v[45:46], -v[49:50]
	;; [unrolled: 1-line block ×3, first 2 shown]
	s_delay_alu instid0(VALU_DEP_1) | instskip(SKIP_1) | instid1(VALU_DEP_2)
	v_add_f64_e64 v[49:50], v[43:44], -v[49:50]
	v_fma_f64 v[43:44], v[8:9], v[36:37], -v[43:44]
	v_add_f64_e32 v[45:46], v[45:46], v[49:50]
	v_mul_f64_e32 v[49:50], v[10:11], v[36:37]
	s_delay_alu instid0(VALU_DEP_1) | instskip(NEXT) | instid1(VALU_DEP_1)
	v_add_f64_e32 v[51:52], v[49:50], v[43:44]
	v_add_f64_e64 v[53:54], v[51:52], -v[49:50]
	s_delay_alu instid0(VALU_DEP_1) | instskip(SKIP_1) | instid1(VALU_DEP_1)
	v_add_f64_e64 v[43:44], v[43:44], -v[53:54]
	v_add_f64_e64 v[53:54], v[51:52], -v[53:54]
	;; [unrolled: 1-line block ×3, first 2 shown]
	s_delay_alu instid0(VALU_DEP_1) | instskip(SKIP_1) | instid1(VALU_DEP_1)
	v_add_f64_e32 v[43:44], v[43:44], v[53:54]
	v_add_f64_e32 v[53:54], v[51:52], v[45:46]
	v_add_f64_e64 v[55:56], v[53:54], -v[51:52]
	s_delay_alu instid0(VALU_DEP_1) | instskip(SKIP_1) | instid1(VALU_DEP_1)
	v_add_f64_e64 v[45:46], v[45:46], -v[55:56]
	v_add_f64_e64 v[55:56], v[53:54], -v[55:56]
	;; [unrolled: 1-line block ×3, first 2 shown]
	v_add_f64_e32 v[55:56], v[38:39], v[47:48]
	s_delay_alu instid0(VALU_DEP_2) | instskip(NEXT) | instid1(VALU_DEP_2)
	v_add_f64_e32 v[45:46], v[45:46], v[51:52]
	v_add_f64_e64 v[38:39], v[55:56], -v[38:39]
	v_ldexp_f64 v[55:56], v[55:56], -2
	s_delay_alu instid0(VALU_DEP_3) | instskip(NEXT) | instid1(VALU_DEP_3)
	v_add_f64_e32 v[43:44], v[43:44], v[45:46]
	v_add_f64_e64 v[38:39], v[47:48], -v[38:39]
	s_delay_alu instid0(VALU_DEP_3) | instskip(SKIP_1) | instid1(VALU_DEP_3)
	v_fract_f64_e32 v[57:58], v[55:56]
	v_cmp_neq_f64_e64 vcc_lo, 0x7ff00000, |v[55:56]|
	v_add_f64_e32 v[45:46], v[38:39], v[53:54]
	s_delay_alu instid0(VALU_DEP_3) | instskip(NEXT) | instid1(VALU_DEP_2)
	v_ldexp_f64 v[57:58], v[57:58], 2
	v_add_f64_e64 v[38:39], v[45:46], -v[38:39]
	s_wait_alu 0xfffd
	s_delay_alu instid0(VALU_DEP_2) | instskip(SKIP_1) | instid1(VALU_DEP_3)
	v_dual_cndmask_b32 v48, 0, v58 :: v_dual_cndmask_b32 v47, 0, v57
	v_fma_f64 v[36:37], v[10:11], v[36:37], -v[49:50]
	v_add_f64_e64 v[38:39], v[53:54], -v[38:39]
	s_delay_alu instid0(VALU_DEP_2) | instskip(NEXT) | instid1(VALU_DEP_4)
	v_add_f64_e32 v[36:37], v[36:37], v[43:44]
	v_add_f64_e32 v[43:44], v[45:46], v[47:48]
	s_delay_alu instid0(VALU_DEP_2) | instskip(NEXT) | instid1(VALU_DEP_2)
	v_add_f64_e32 v[36:37], v[38:39], v[36:37]
	v_cmp_gt_f64_e32 vcc_lo, 0, v[43:44]
	s_wait_alu 0xfffd
	v_cndmask_b32_e64 v23, 0, 0x40100000, vcc_lo
	s_delay_alu instid0(VALU_DEP_1) | instskip(NEXT) | instid1(VALU_DEP_1)
	v_add_f64_e32 v[43:44], v[47:48], v[22:23]
	v_add_f64_e32 v[47:48], v[45:46], v[43:44]
	s_delay_alu instid0(VALU_DEP_1) | instskip(NEXT) | instid1(VALU_DEP_1)
	v_cvt_i32_f64_e32 v49, v[47:48]
	v_cvt_f64_i32_e32 v[47:48], v49
	s_delay_alu instid0(VALU_DEP_1) | instskip(NEXT) | instid1(VALU_DEP_1)
	v_add_f64_e64 v[43:44], v[43:44], -v[47:48]
	v_add_f64_e32 v[38:39], v[45:46], v[43:44]
	s_delay_alu instid0(VALU_DEP_1) | instskip(SKIP_1) | instid1(VALU_DEP_2)
	v_add_f64_e64 v[43:44], v[38:39], -v[43:44]
	v_cmp_le_f64_e32 vcc_lo, 0.5, v[38:39]
	v_add_f64_e64 v[43:44], v[45:46], -v[43:44]
	s_wait_alu 0xfffd
	v_cndmask_b32_e64 v23, 0, 0x3ff00000, vcc_lo
	s_delay_alu instid0(VALU_DEP_1) | instskip(SKIP_1) | instid1(VALU_DEP_4)
	v_add_f64_e64 v[38:39], v[38:39], -v[22:23]
	v_add_co_ci_u32_e64 v23, null, 0, v49, vcc_lo
	v_add_f64_e32 v[36:37], v[36:37], v[43:44]
	s_delay_alu instid0(VALU_DEP_1) | instskip(NEXT) | instid1(VALU_DEP_1)
	v_add_f64_e32 v[43:44], v[38:39], v[36:37]
	v_add_f64_e64 v[38:39], v[43:44], -v[38:39]
	s_delay_alu instid0(VALU_DEP_1) | instskip(SKIP_1) | instid1(VALU_DEP_1)
	v_add_f64_e64 v[36:37], v[36:37], -v[38:39]
	v_mul_f64_e32 v[38:39], s[68:69], v[43:44]
	v_fma_f64 v[45:46], v[43:44], s[68:69], -v[38:39]
	s_delay_alu instid0(VALU_DEP_1) | instskip(NEXT) | instid1(VALU_DEP_1)
	v_fma_f64 v[43:44], v[43:44], s[16:17], v[45:46]
	v_fma_f64 v[43:44], v[36:37], s[68:69], v[43:44]
	s_delay_alu instid0(VALU_DEP_1) | instskip(NEXT) | instid1(VALU_DEP_1)
	v_add_f64_e32 v[36:37], v[38:39], v[43:44]
	v_add_f64_e64 v[38:39], v[36:37], -v[38:39]
	s_delay_alu instid0(VALU_DEP_1)
	v_add_f64_e64 v[38:39], v[43:44], -v[38:39]
.LBB0_51:                               ;   in Loop: Header=BB0_37 Depth=2
	s_wait_alu 0xfffe
	s_and_not1_saveexec_b32 s12, s0
	s_cbranch_execz .LBB0_53
; %bb.52:                               ;   in Loop: Header=BB0_37 Depth=2
	v_mul_f64_e64 v[36:37], |v[2:3]|, s[72:73]
	s_mov_b32 s0, s68
	s_mov_b32 s18, s74
	;; [unrolled: 1-line block ×3, first 2 shown]
	s_delay_alu instid0(VALU_DEP_1) | instskip(SKIP_1) | instid1(VALU_DEP_1)
	v_rndne_f64_e32 v[43:44], v[36:37]
	s_wait_alu 0xfffe
	v_fma_f64 v[36:37], v[43:44], s[0:1], |v[2:3]|
	v_mul_f64_e32 v[38:39], s[74:75], v[43:44]
	v_cvt_i32_f64_e32 v23, v[43:44]
	s_delay_alu instid0(VALU_DEP_3) | instskip(NEXT) | instid1(VALU_DEP_3)
	v_fma_f64 v[47:48], v[43:44], s[74:75], v[36:37]
	v_add_f64_e32 v[45:46], v[36:37], v[38:39]
	s_delay_alu instid0(VALU_DEP_1) | instskip(NEXT) | instid1(VALU_DEP_3)
	v_add_f64_e64 v[36:37], v[36:37], -v[45:46]
	v_add_f64_e64 v[45:46], v[45:46], -v[47:48]
	s_delay_alu instid0(VALU_DEP_2) | instskip(SKIP_1) | instid1(VALU_DEP_2)
	v_add_f64_e32 v[36:37], v[36:37], v[38:39]
	v_fma_f64 v[38:39], v[43:44], s[18:19], v[38:39]
	v_add_f64_e32 v[36:37], v[45:46], v[36:37]
	s_delay_alu instid0(VALU_DEP_1) | instskip(NEXT) | instid1(VALU_DEP_1)
	v_add_f64_e64 v[36:37], v[36:37], -v[38:39]
	v_fma_f64 v[38:39], v[43:44], s[76:77], v[36:37]
	s_delay_alu instid0(VALU_DEP_1) | instskip(NEXT) | instid1(VALU_DEP_1)
	v_add_f64_e32 v[36:37], v[47:48], v[38:39]
	v_add_f64_e64 v[45:46], v[36:37], -v[47:48]
	s_delay_alu instid0(VALU_DEP_1)
	v_add_f64_e64 v[38:39], v[38:39], -v[45:46]
.LBB0_53:                               ;   in Loop: Header=BB0_37 Depth=2
	s_wait_alu 0xfffe
	s_or_b32 exec_lo, exec_lo, s12
	v_mul_f64_e32 v[43:44], v[36:37], v[36:37]
	s_delay_alu instid0(VALU_DEP_2) | instskip(SKIP_1) | instid1(VALU_DEP_2)
	v_mul_f64_e32 v[53:54], 0.5, v[38:39]
	s_mov_b32 s12, s88
	v_mul_f64_e32 v[45:46], 0.5, v[43:44]
	v_fma_f64 v[47:48], v[43:44], s[92:93], s[90:91]
	s_delay_alu instid0(VALU_DEP_2) | instskip(NEXT) | instid1(VALU_DEP_2)
	v_add_f64_e64 v[49:50], -v[45:46], 1.0
	v_fma_f64 v[47:48], v[43:44], v[47:48], s[94:95]
	s_delay_alu instid0(VALU_DEP_2) | instskip(NEXT) | instid1(VALU_DEP_2)
	v_add_f64_e64 v[51:52], -v[49:50], 1.0
	v_fma_f64 v[47:48], v[43:44], v[47:48], s[96:97]
	s_delay_alu instid0(VALU_DEP_2) | instskip(SKIP_1) | instid1(VALU_DEP_3)
	v_add_f64_e64 v[45:46], v[51:52], -v[45:46]
	v_mul_f64_e64 v[51:52], v[36:37], -v[43:44]
	v_fma_f64 v[47:48], v[43:44], v[47:48], s[98:99]
	s_delay_alu instid0(VALU_DEP_1) | instskip(SKIP_1) | instid1(VALU_DEP_2)
	v_fma_f64 v[47:48], v[51:52], v[47:48], v[53:54]
	v_fma_f64 v[53:54], v[43:44], s[80:81], s[78:79]
	v_fma_f64 v[47:48], v[43:44], v[47:48], -v[38:39]
	s_delay_alu instid0(VALU_DEP_2) | instskip(SKIP_3) | instid1(VALU_DEP_4)
	v_fma_f64 v[53:54], v[43:44], v[53:54], s[82:83]
	v_fma_f64 v[38:39], v[36:37], -v[38:39], v[45:46]
	v_mul_f64_e32 v[45:46], v[43:44], v[43:44]
	s_wait_alu 0xfffe
	v_fma_f64 v[47:48], v[51:52], s[12:13], v[47:48]
	s_delay_alu instid0(VALU_DEP_4) | instskip(NEXT) | instid1(VALU_DEP_2)
	v_fma_f64 v[53:54], v[43:44], v[53:54], s[84:85]
	v_add_f64_e64 v[36:37], v[36:37], -v[47:48]
	s_delay_alu instid0(VALU_DEP_2) | instskip(NEXT) | instid1(VALU_DEP_2)
	v_fma_f64 v[53:54], v[43:44], v[53:54], s[86:87]
	v_xor_b32_e32 v37, 0x80000000, v37
	s_delay_alu instid0(VALU_DEP_2) | instskip(NEXT) | instid1(VALU_DEP_1)
	v_fma_f64 v[43:44], v[43:44], v[53:54], s[88:89]
	v_fma_f64 v[38:39], v[45:46], v[43:44], v[38:39]
	s_delay_alu instid0(VALU_DEP_1) | instskip(SKIP_2) | instid1(VALU_DEP_2)
	v_add_f64_e32 v[38:39], v[49:50], v[38:39]
	v_and_b32_e32 v43, 1, v23
	v_lshlrev_b32_e32 v23, 30, v23
	v_cmp_eq_u32_e32 vcc_lo, 0, v43
	s_wait_alu 0xfffd
	s_delay_alu instid0(VALU_DEP_2) | instskip(SKIP_3) | instid1(VALU_DEP_3)
	v_dual_cndmask_b32 v36, v36, v38 :: v_dual_and_b32 v23, 0x80000000, v23
	v_cndmask_b32_e32 v37, v37, v39, vcc_lo
	v_cmp_class_f64_e64 vcc_lo, v[2:3], 0x1f8
                                        ; implicit-def: $vgpr38_vgpr39
	s_wait_alu 0xfffd
	v_cndmask_b32_e32 v36, 0, v36, vcc_lo
	s_delay_alu instid0(VALU_DEP_3) | instskip(NEXT) | instid1(VALU_DEP_1)
	v_xor_b32_e32 v23, v37, v23
	v_cndmask_b32_e32 v37, 0x7ff80000, v23, vcc_lo
                                        ; implicit-def: $vgpr23
	ds_store_b64 v41, v[36:37]
                                        ; implicit-def: $vgpr36_vgpr37
	s_and_saveexec_b32 s0, s15
	s_wait_alu 0xfffe
	s_xor_b32 s12, exec_lo, s0
	s_cbranch_execz .LBB0_55
; %bb.54:                               ;   in Loop: Header=BB0_37 Depth=2
	v_cmp_le_f64_e64 s0, 0x7b000000, |v[2:3]|
	s_wait_alu 0xf1ff
	s_delay_alu instid0(VALU_DEP_1) | instskip(SKIP_1) | instid1(VALU_DEP_1)
	v_cndmask_b32_e64 v15, v42, v15, s0
	v_cndmask_b32_e64 v14, v2, v14, s0
	v_mul_f64_e32 v[36:37], v[12:13], v[14:15]
	v_mul_f64_e32 v[38:39], v[8:9], v[14:15]
	;; [unrolled: 1-line block ×3, first 2 shown]
	s_delay_alu instid0(VALU_DEP_3) | instskip(NEXT) | instid1(VALU_DEP_3)
	v_fma_f64 v[12:13], v[12:13], v[14:15], -v[36:37]
	v_fma_f64 v[8:9], v[8:9], v[14:15], -v[38:39]
	s_delay_alu instid0(VALU_DEP_3) | instskip(NEXT) | instid1(VALU_DEP_3)
	v_fma_f64 v[10:11], v[10:11], v[14:15], -v[42:43]
	v_add_f64_e32 v[44:45], v[38:39], v[12:13]
	s_delay_alu instid0(VALU_DEP_1) | instskip(NEXT) | instid1(VALU_DEP_1)
	v_add_f64_e64 v[14:15], v[44:45], -v[38:39]
	v_add_f64_e64 v[12:13], v[12:13], -v[14:15]
	;; [unrolled: 1-line block ×3, first 2 shown]
	s_delay_alu instid0(VALU_DEP_1) | instskip(SKIP_1) | instid1(VALU_DEP_2)
	v_add_f64_e64 v[14:15], v[38:39], -v[14:15]
	v_add_f64_e32 v[38:39], v[42:43], v[8:9]
	v_add_f64_e32 v[12:13], v[12:13], v[14:15]
	s_delay_alu instid0(VALU_DEP_2) | instskip(NEXT) | instid1(VALU_DEP_1)
	v_add_f64_e64 v[46:47], v[38:39], -v[42:43]
	v_add_f64_e64 v[8:9], v[8:9], -v[46:47]
	;; [unrolled: 1-line block ×3, first 2 shown]
	s_delay_alu instid0(VALU_DEP_1) | instskip(SKIP_1) | instid1(VALU_DEP_2)
	v_add_f64_e64 v[42:43], v[42:43], -v[46:47]
	v_add_f64_e32 v[46:47], v[36:37], v[44:45]
	v_add_f64_e32 v[8:9], v[8:9], v[42:43]
	s_delay_alu instid0(VALU_DEP_2) | instskip(NEXT) | instid1(VALU_DEP_1)
	v_add_f64_e64 v[36:37], v[46:47], -v[36:37]
	v_add_f64_e64 v[36:37], v[44:45], -v[36:37]
	v_ldexp_f64 v[44:45], v[46:47], -2
	s_delay_alu instid0(VALU_DEP_1) | instskip(SKIP_2) | instid1(VALU_DEP_3)
	v_fract_f64_e32 v[14:15], v[44:45]
	v_cmp_neq_f64_e64 s0, 0x7ff00000, |v[44:45]|
	v_add_f64_e32 v[44:45], v[38:39], v[12:13]
	v_ldexp_f64 v[14:15], v[14:15], 2
	s_delay_alu instid0(VALU_DEP_2) | instskip(SKIP_1) | instid1(VALU_DEP_2)
	v_add_f64_e64 v[42:43], v[44:45], -v[38:39]
	s_wait_alu 0xf1ff
	v_cndmask_b32_e64 v15, 0, v15, s0
	s_delay_alu instid0(VALU_DEP_3) | instskip(NEXT) | instid1(VALU_DEP_3)
	v_cndmask_b32_e64 v14, 0, v14, s0
	v_add_f64_e64 v[12:13], v[12:13], -v[42:43]
	v_add_f64_e64 v[42:43], v[44:45], -v[42:43]
	s_delay_alu instid0(VALU_DEP_1) | instskip(SKIP_1) | instid1(VALU_DEP_2)
	v_add_f64_e64 v[38:39], v[38:39], -v[42:43]
	v_add_f64_e32 v[42:43], v[36:37], v[44:45]
	v_add_f64_e32 v[12:13], v[12:13], v[38:39]
	s_delay_alu instid0(VALU_DEP_2) | instskip(SKIP_1) | instid1(VALU_DEP_3)
	v_add_f64_e32 v[46:47], v[42:43], v[14:15]
	v_add_f64_e64 v[36:37], v[42:43], -v[36:37]
	v_add_f64_e32 v[8:9], v[8:9], v[12:13]
	s_delay_alu instid0(VALU_DEP_3) | instskip(NEXT) | instid1(VALU_DEP_3)
	v_cmp_gt_f64_e64 s0, 0, v[46:47]
	v_add_f64_e64 v[36:37], v[44:45], -v[36:37]
	s_delay_alu instid0(VALU_DEP_3) | instskip(SKIP_1) | instid1(VALU_DEP_3)
	v_add_f64_e32 v[8:9], v[10:11], v[8:9]
	s_wait_alu 0xf1ff
	v_cndmask_b32_e64 v23, 0, 0x40100000, s0
	s_delay_alu instid0(VALU_DEP_1) | instskip(NEXT) | instid1(VALU_DEP_3)
	v_add_f64_e32 v[14:15], v[14:15], v[22:23]
	v_add_f64_e32 v[8:9], v[36:37], v[8:9]
	s_delay_alu instid0(VALU_DEP_2) | instskip(NEXT) | instid1(VALU_DEP_1)
	v_add_f64_e32 v[38:39], v[42:43], v[14:15]
	v_cvt_i32_f64_e32 v46, v[38:39]
	s_delay_alu instid0(VALU_DEP_1) | instskip(NEXT) | instid1(VALU_DEP_1)
	v_cvt_f64_i32_e32 v[38:39], v46
	v_add_f64_e64 v[14:15], v[14:15], -v[38:39]
	s_delay_alu instid0(VALU_DEP_1) | instskip(NEXT) | instid1(VALU_DEP_1)
	v_add_f64_e32 v[12:13], v[42:43], v[14:15]
	v_add_f64_e64 v[10:11], v[12:13], -v[14:15]
	v_cmp_le_f64_e64 s0, 0.5, v[12:13]
	s_delay_alu instid0(VALU_DEP_2) | instskip(SKIP_1) | instid1(VALU_DEP_2)
	v_add_f64_e64 v[10:11], v[42:43], -v[10:11]
	s_wait_alu 0xf1ff
	v_cndmask_b32_e64 v23, 0, 0x3ff00000, s0
	s_delay_alu instid0(VALU_DEP_1) | instskip(SKIP_1) | instid1(VALU_DEP_4)
	v_add_f64_e64 v[12:13], v[12:13], -v[22:23]
	v_add_co_ci_u32_e64 v23, null, 0, v46, s0
	v_add_f64_e32 v[8:9], v[8:9], v[10:11]
	s_delay_alu instid0(VALU_DEP_1) | instskip(NEXT) | instid1(VALU_DEP_1)
	v_add_f64_e32 v[10:11], v[12:13], v[8:9]
	v_mul_f64_e32 v[14:15], s[68:69], v[10:11]
	v_add_f64_e64 v[12:13], v[10:11], -v[12:13]
	s_delay_alu instid0(VALU_DEP_2) | instskip(NEXT) | instid1(VALU_DEP_2)
	v_fma_f64 v[36:37], v[10:11], s[68:69], -v[14:15]
	v_add_f64_e64 v[8:9], v[8:9], -v[12:13]
	s_delay_alu instid0(VALU_DEP_2) | instskip(NEXT) | instid1(VALU_DEP_1)
	v_fma_f64 v[10:11], v[10:11], s[16:17], v[36:37]
	v_fma_f64 v[8:9], v[8:9], s[68:69], v[10:11]
	s_delay_alu instid0(VALU_DEP_1) | instskip(NEXT) | instid1(VALU_DEP_1)
	v_add_f64_e32 v[36:37], v[14:15], v[8:9]
	v_add_f64_e64 v[10:11], v[36:37], -v[14:15]
	s_delay_alu instid0(VALU_DEP_1)
	v_add_f64_e64 v[38:39], v[8:9], -v[10:11]
.LBB0_55:                               ;   in Loop: Header=BB0_37 Depth=2
	s_wait_alu 0xfffe
	s_and_not1_saveexec_b32 s12, s12
	s_cbranch_execz .LBB0_36
; %bb.56:                               ;   in Loop: Header=BB0_37 Depth=2
	v_mul_f64_e64 v[8:9], |v[2:3]|, s[72:73]
	s_mov_b32 s0, s68
	s_mov_b32 s18, s74
	;; [unrolled: 1-line block ×3, first 2 shown]
	s_delay_alu instid0(VALU_DEP_1) | instskip(SKIP_1) | instid1(VALU_DEP_1)
	v_rndne_f64_e32 v[8:9], v[8:9]
	s_wait_alu 0xfffe
	v_fma_f64 v[10:11], v[8:9], s[0:1], |v[2:3]|
	v_mul_f64_e32 v[12:13], s[74:75], v[8:9]
	v_cvt_i32_f64_e32 v23, v[8:9]
	s_delay_alu instid0(VALU_DEP_3) | instskip(NEXT) | instid1(VALU_DEP_3)
	v_fma_f64 v[38:39], v[8:9], s[74:75], v[10:11]
	v_add_f64_e32 v[14:15], v[10:11], v[12:13]
	s_delay_alu instid0(VALU_DEP_1) | instskip(NEXT) | instid1(VALU_DEP_3)
	v_add_f64_e64 v[10:11], v[10:11], -v[14:15]
	v_add_f64_e64 v[14:15], v[14:15], -v[38:39]
	s_delay_alu instid0(VALU_DEP_2) | instskip(SKIP_1) | instid1(VALU_DEP_2)
	v_add_f64_e32 v[10:11], v[10:11], v[12:13]
	v_fma_f64 v[12:13], v[8:9], s[18:19], v[12:13]
	v_add_f64_e32 v[10:11], v[14:15], v[10:11]
	s_delay_alu instid0(VALU_DEP_1) | instskip(NEXT) | instid1(VALU_DEP_1)
	v_add_f64_e64 v[10:11], v[10:11], -v[12:13]
	v_fma_f64 v[10:11], v[8:9], s[76:77], v[10:11]
	s_delay_alu instid0(VALU_DEP_1) | instskip(NEXT) | instid1(VALU_DEP_1)
	v_add_f64_e32 v[36:37], v[38:39], v[10:11]
	v_add_f64_e64 v[12:13], v[36:37], -v[38:39]
	s_delay_alu instid0(VALU_DEP_1)
	v_add_f64_e64 v[38:39], v[10:11], -v[12:13]
	s_branch .LBB0_36
.LBB0_57:                               ;   in Loop: Header=BB0_34 Depth=1
	v_readlane_b32 s8, v105, 0
	v_readlane_b32 s11, v105, 3
	v_cmp_eq_u32_e32 vcc_lo, v40, v5
	v_readlane_b32 s6, v105, 4
	v_readlane_b32 s7, v105, 5
	s_mov_b32 s12, exec_lo
	s_wait_alu 0xf1ff
	v_mad_co_u64_u32 v[0:1], null, v4, s11, v[5:6]
	v_readlane_b32 s9, v105, 1
	v_readlane_b32 s10, v105, 2
	s_wait_alu 0xfffd
	s_delay_alu instid0(VALU_DEP_3) | instskip(NEXT) | instid1(VALU_DEP_1)
	v_subrev_co_ci_u32_e64 v0, null, 0, v0, vcc_lo
	v_ashrrev_i32_e32 v1, 31, v0
	s_delay_alu instid0(VALU_DEP_1) | instskip(NEXT) | instid1(VALU_DEP_1)
	v_lshlrev_b64_e32 v[0:1], 5, v[0:1]
	v_add_co_u32 v0, vcc_lo, s6, v0
	s_wait_alu 0xfffd
	s_delay_alu instid0(VALU_DEP_2)
	v_add_co_ci_u32_e64 v1, null, s7, v1, vcc_lo
	s_clause 0x1
	global_load_b128 v[8:11], v[0:1], off
	global_load_b128 v[0:3], v[0:1], off offset:16
	s_wait_loadcnt 0x1
	v_mul_f64_e32 v[36:37], v[18:19], v[8:9]
	v_mul_f64_e32 v[38:39], v[18:19], v[10:11]
	s_wait_loadcnt 0x0
	v_mul_f64_e32 v[0:1], v[18:19], v[0:1]
	v_cmpx_lt_i32_e64 v2, v3
	s_cbranch_execz .LBB0_61
; %bb.58:                               ;   in Loop: Header=BB0_34 Depth=1
	v_readlane_b32 s6, v105, 6
	s_mov_b32 s14, 0
	v_readlane_b32 s7, v105, 7
	s_wait_alu 0xf1ff
	v_mad_co_u64_u32 v[8:9], null, v4, s6, v[2:3]
	s_delay_alu instid0(VALU_DEP_1)
	v_mad_co_i64_i32 v[8:9], null, 0x48, v8, s[2:3]
.LBB0_59:                               ;   Parent Loop BB0_34 Depth=1
                                        ; =>  This Inner Loop Header: Depth=2
	s_clause 0x1
	global_load_b128 v[10:13], v[8:9], off
	global_load_b128 v[41:44], v[8:9], off offset:16
	v_add_nc_u32_e32 v2, 1, v2
	s_wait_loadcnt 0x1
	v_add_f64_e64 v[10:11], v[10:11], -v[32:33]
	v_mul_f64_e32 v[14:15], v[12:13], v[12:13]
	s_delay_alu instid0(VALU_DEP_2) | instskip(SKIP_1) | instid1(VALU_DEP_3)
	v_fma_f64 v[45:46], v[10:11], 0, v[12:13]
	v_fma_f64 v[12:13], 0x80000000, v[12:13], v[10:11]
	;; [unrolled: 1-line block ×3, first 2 shown]
	s_delay_alu instid0(VALU_DEP_1) | instskip(NEXT) | instid1(VALU_DEP_1)
	v_div_scale_f64 v[14:15], null, v[10:11], v[10:11], v[45:46]
	v_rcp_f64_e32 v[47:48], v[14:15]
	s_delay_alu instid0(TRANS32_DEP_1) | instskip(NEXT) | instid1(VALU_DEP_1)
	v_fma_f64 v[49:50], -v[14:15], v[47:48], 1.0
	v_fma_f64 v[47:48], v[47:48], v[49:50], v[47:48]
	s_delay_alu instid0(VALU_DEP_1) | instskip(NEXT) | instid1(VALU_DEP_1)
	v_fma_f64 v[49:50], -v[14:15], v[47:48], 1.0
	v_fma_f64 v[47:48], v[47:48], v[49:50], v[47:48]
	v_div_scale_f64 v[49:50], vcc_lo, v[45:46], v[10:11], v[45:46]
	s_delay_alu instid0(VALU_DEP_1) | instskip(NEXT) | instid1(VALU_DEP_1)
	v_mul_f64_e32 v[51:52], v[49:50], v[47:48]
	v_fma_f64 v[14:15], -v[14:15], v[51:52], v[49:50]
	s_wait_alu 0xfffd
	s_delay_alu instid0(VALU_DEP_1) | instskip(SKIP_1) | instid1(VALU_DEP_2)
	v_div_fmas_f64 v[14:15], v[14:15], v[47:48], v[51:52]
	v_div_scale_f64 v[47:48], null, v[10:11], v[10:11], v[12:13]
	v_div_fixup_f64 v[14:15], v[14:15], v[10:11], v[45:46]
	s_delay_alu instid0(VALU_DEP_2) | instskip(NEXT) | instid1(TRANS32_DEP_1)
	v_rcp_f64_e32 v[49:50], v[47:48]
	v_fma_f64 v[51:52], -v[47:48], v[49:50], 1.0
	s_delay_alu instid0(VALU_DEP_1) | instskip(NEXT) | instid1(VALU_DEP_1)
	v_fma_f64 v[49:50], v[49:50], v[51:52], v[49:50]
	v_fma_f64 v[51:52], -v[47:48], v[49:50], 1.0
	s_delay_alu instid0(VALU_DEP_1) | instskip(SKIP_1) | instid1(VALU_DEP_1)
	v_fma_f64 v[49:50], v[49:50], v[51:52], v[49:50]
	v_div_scale_f64 v[51:52], vcc_lo, v[12:13], v[10:11], v[12:13]
	v_mul_f64_e32 v[53:54], v[51:52], v[49:50]
	s_delay_alu instid0(VALU_DEP_1) | instskip(SKIP_1) | instid1(VALU_DEP_1)
	v_fma_f64 v[47:48], -v[47:48], v[53:54], v[51:52]
	s_wait_alu 0xfffd
	v_div_fmas_f64 v[47:48], v[47:48], v[49:50], v[53:54]
	s_delay_alu instid0(VALU_DEP_1) | instskip(NEXT) | instid1(VALU_DEP_1)
	v_div_fixup_f64 v[10:11], v[47:48], v[10:11], v[12:13]
	v_mul_f64_e32 v[12:13], 0, v[10:11]
	s_delay_alu instid0(VALU_DEP_1) | instskip(SKIP_1) | instid1(VALU_DEP_2)
	v_fma_f64 v[12:13], v[18:19], v[14:15], v[12:13]
	v_mul_f64_e32 v[14:15], 0x80000000, v[14:15]
	v_div_scale_f64 v[45:46], null, v[26:27], v[26:27], v[12:13]
	s_delay_alu instid0(VALU_DEP_2) | instskip(NEXT) | instid1(VALU_DEP_2)
	v_fma_f64 v[10:11], v[18:19], v[10:11], v[14:15]
	v_rcp_f64_e32 v[47:48], v[45:46]
	s_delay_alu instid0(VALU_DEP_1) | instskip(NEXT) | instid1(TRANS32_DEP_1)
	v_div_scale_f64 v[14:15], null, v[26:27], v[26:27], v[10:11]
	v_fma_f64 v[49:50], -v[45:46], v[47:48], 1.0
	s_delay_alu instid0(VALU_DEP_1) | instskip(NEXT) | instid1(VALU_DEP_1)
	v_fma_f64 v[47:48], v[47:48], v[49:50], v[47:48]
	v_fma_f64 v[49:50], -v[45:46], v[47:48], 1.0
	s_delay_alu instid0(VALU_DEP_1) | instskip(SKIP_1) | instid1(VALU_DEP_1)
	v_fma_f64 v[47:48], v[47:48], v[49:50], v[47:48]
	v_div_scale_f64 v[49:50], vcc_lo, v[12:13], v[26:27], v[12:13]
	v_mul_f64_e32 v[51:52], v[49:50], v[47:48]
	s_delay_alu instid0(VALU_DEP_1) | instskip(SKIP_1) | instid1(VALU_DEP_1)
	v_fma_f64 v[45:46], -v[45:46], v[51:52], v[49:50]
	s_wait_alu 0xfffd
	v_div_fmas_f64 v[45:46], v[45:46], v[47:48], v[51:52]
	v_rcp_f64_e32 v[47:48], v[14:15]
	s_delay_alu instid0(TRANS32_DEP_1) | instskip(NEXT) | instid1(VALU_DEP_1)
	v_fma_f64 v[49:50], -v[14:15], v[47:48], 1.0
	v_fma_f64 v[47:48], v[47:48], v[49:50], v[47:48]
	s_delay_alu instid0(VALU_DEP_1) | instskip(NEXT) | instid1(VALU_DEP_1)
	v_fma_f64 v[49:50], -v[14:15], v[47:48], 1.0
	v_fma_f64 v[47:48], v[47:48], v[49:50], v[47:48]
	v_div_scale_f64 v[49:50], vcc_lo, v[10:11], v[26:27], v[10:11]
	s_delay_alu instid0(VALU_DEP_1) | instskip(NEXT) | instid1(VALU_DEP_1)
	v_mul_f64_e32 v[51:52], v[49:50], v[47:48]
	v_fma_f64 v[14:15], -v[14:15], v[51:52], v[49:50]
	v_div_fixup_f64 v[49:50], v[45:46], v[26:27], v[12:13]
	s_wait_alu 0xfffd
	s_delay_alu instid0(VALU_DEP_2) | instskip(SKIP_3) | instid1(VALU_DEP_2)
	v_div_fmas_f64 v[14:15], v[14:15], v[47:48], v[51:52]
	v_cmp_ge_i32_e32 vcc_lo, v2, v3
	s_wait_alu 0xfffe
	s_or_b32 s14, vcc_lo, s14
	v_div_fixup_f64 v[14:15], v[14:15], v[26:27], v[10:11]
	global_load_i16 v10, v[8:9], off offset:64
	s_wait_loadcnt 0x0
	v_lshl_add_u32 v10, v10, 4, v84
	ds_load_b128 v[10:13], v10
	s_wait_dscnt 0x0
	v_mul_f64_e32 v[45:46], v[49:50], v[12:13]
	v_mul_f64_e32 v[12:13], v[14:15], v[12:13]
	s_delay_alu instid0(VALU_DEP_2) | instskip(NEXT) | instid1(VALU_DEP_2)
	v_fma_f64 v[51:52], v[14:15], v[10:11], v[45:46]
	v_fma_f64 v[53:54], v[49:50], v[10:11], -v[12:13]
	s_clause 0x1
	global_load_b128 v[10:13], v[8:9], off offset:32
	global_load_b128 v[45:48], v[8:9], off offset:48
	v_add_co_u32 v8, s0, 0x48, v8
	s_wait_alu 0xf1ff
	v_add_co_ci_u32_e64 v9, null, 0, v9, s0
	s_wait_loadcnt 0x1
	v_mul_f64_e32 v[12:13], v[12:13], v[14:15]
	s_delay_alu instid0(VALU_DEP_1) | instskip(SKIP_3) | instid1(VALU_DEP_3)
	v_fma_f64 v[10:11], v[10:11], v[49:50], -v[12:13]
	s_wait_loadcnt 0x0
	v_mul_f64_e32 v[12:13], v[47:48], v[14:15]
	v_mul_f64_e32 v[14:15], v[43:44], v[51:52]
	v_add_f64_e32 v[38:39], v[38:39], v[10:11]
	s_delay_alu instid0(VALU_DEP_3) | instskip(NEXT) | instid1(VALU_DEP_3)
	v_fma_f64 v[12:13], v[45:46], v[49:50], -v[12:13]
	v_fma_f64 v[14:15], v[41:42], v[53:54], -v[14:15]
	s_delay_alu instid0(VALU_DEP_2) | instskip(NEXT) | instid1(VALU_DEP_2)
	v_add_f64_e32 v[0:1], v[0:1], v[12:13]
	v_add_f64_e32 v[36:37], v[36:37], v[14:15]
	s_wait_alu 0xfffe
	s_and_not1_b32 exec_lo, exec_lo, s14
	s_cbranch_execnz .LBB0_59
; %bb.60:                               ;   in Loop: Header=BB0_34 Depth=1
	s_or_b32 exec_lo, exec_lo, s14
.LBB0_61:                               ;   in Loop: Header=BB0_34 Depth=1
	s_wait_alu 0xfffe
	s_or_b32 exec_lo, exec_lo, s12
	s_delay_alu instid0(VALU_DEP_1)
	v_add_f64_e64 v[2:3], v[36:37], -v[38:39]
	s_mov_b32 s0, 0
.LBB0_62:                               ;   in Loop: Header=BB0_34 Depth=1
	s_mov_b32 s20, 0xafdb7b46
	s_wait_alu 0xfffe
	s_and_b32 vcc_lo, exec_lo, s0
	s_mov_b32 s21, 0xbfd19dc7
	s_wait_alu 0xfffe
	s_cbranch_vccz .LBB0_33
; %bb.63:                               ;   in Loop: Header=BB0_34 Depth=1
	v_lshlrev_b64_e32 v[0:1], 3, v[6:7]
	v_readlane_b32 s15, v105, 14
	s_mov_b32 s14, 0
	v_add_co_u32 v0, vcc_lo, s22, v0
	s_wait_alu 0xfffd
	v_add_co_ci_u32_e64 v1, null, s23, v1, vcc_lo
	s_branch .LBB0_65
.LBB0_64:                               ;   in Loop: Header=BB0_65 Depth=2
	s_wait_alu 0xfffe
	s_or_b32 exec_lo, exec_lo, s12
	v_mul_f64_e32 v[6:7], v[14:15], v[14:15]
	s_mov_b32 s12, s88
	v_lshlrev_b32_e32 v2, 30, v23
	s_add_co_i32 s14, s14, 1
	s_delay_alu instid0(VALU_DEP_1) | instskip(SKIP_1) | instid1(VALU_DEP_2)
	v_xor_b32_e32 v2, v2, v3
	v_and_b32_e32 v3, 1, v23
	v_and_b32_e32 v2, 0x80000000, v2
	s_delay_alu instid0(VALU_DEP_2) | instskip(SKIP_3) | instid1(VALU_DEP_3)
	v_cmp_eq_u32_e64 s0, 0, v3
	v_mul_f64_e32 v[8:9], 0.5, v[6:7]
	v_fma_f64 v[10:11], v[6:7], s[92:93], s[90:91]
	v_mul_f64_e64 v[41:42], v[14:15], -v[6:7]
	v_add_f64_e64 v[12:13], -v[8:9], 1.0
	s_delay_alu instid0(VALU_DEP_3) | instskip(NEXT) | instid1(VALU_DEP_2)
	v_fma_f64 v[10:11], v[6:7], v[10:11], s[94:95]
	v_add_f64_e64 v[38:39], -v[12:13], 1.0
	s_delay_alu instid0(VALU_DEP_2) | instskip(NEXT) | instid1(VALU_DEP_2)
	v_fma_f64 v[10:11], v[6:7], v[10:11], s[96:97]
	v_add_f64_e64 v[8:9], v[38:39], -v[8:9]
	v_mul_f64_e32 v[38:39], 0.5, v[36:37]
	s_delay_alu instid0(VALU_DEP_3) | instskip(NEXT) | instid1(VALU_DEP_3)
	v_fma_f64 v[10:11], v[6:7], v[10:11], s[98:99]
	v_fma_f64 v[8:9], v[14:15], -v[36:37], v[8:9]
	s_delay_alu instid0(VALU_DEP_2) | instskip(NEXT) | instid1(VALU_DEP_1)
	v_fma_f64 v[10:11], v[41:42], v[10:11], v[38:39]
	v_fma_f64 v[10:11], v[6:7], v[10:11], -v[36:37]
	v_fma_f64 v[36:37], v[6:7], s[80:81], s[78:79]
	s_delay_alu instid0(VALU_DEP_1) | instskip(NEXT) | instid1(VALU_DEP_1)
	v_fma_f64 v[36:37], v[6:7], v[36:37], s[82:83]
	v_fma_f64 v[36:37], v[6:7], v[36:37], s[84:85]
	s_delay_alu instid0(VALU_DEP_1) | instskip(NEXT) | instid1(VALU_DEP_1)
	v_fma_f64 v[36:37], v[6:7], v[36:37], s[86:87]
	v_fma_f64 v[36:37], v[6:7], v[36:37], s[88:89]
	v_mul_f64_e32 v[6:7], v[6:7], v[6:7]
	s_delay_alu instid0(VALU_DEP_1) | instskip(SKIP_2) | instid1(VALU_DEP_2)
	v_fma_f64 v[6:7], v[6:7], v[36:37], v[8:9]
	s_wait_alu 0xfffe
	v_fma_f64 v[8:9], v[41:42], s[12:13], v[10:11]
	v_add_f64_e32 v[6:7], v[12:13], v[6:7]
	s_delay_alu instid0(VALU_DEP_2) | instskip(SKIP_1) | instid1(VALU_DEP_1)
	v_add_f64_e64 v[8:9], v[14:15], -v[8:9]
	s_wait_alu 0xf1ff
	v_cndmask_b32_e64 v3, v7, v9, s0
	s_delay_alu instid0(VALU_DEP_2) | instskip(NEXT) | instid1(VALU_DEP_2)
	v_cndmask_b32_e64 v6, v6, v8, s0
	v_xor_b32_e32 v3, v3, v2
	s_delay_alu instid0(VALU_DEP_2) | instskip(NEXT) | instid1(VALU_DEP_2)
	v_cndmask_b32_e32 v2, 0, v6, vcc_lo
	v_cndmask_b32_e64 v3, 0xfff80000, -v3, vcc_lo
	v_add_co_u32 v0, vcc_lo, v0, 8
	s_wait_alu 0xfffd
	v_add_co_ci_u32_e64 v1, null, 0, v1, vcc_lo
	scratch_store_b64 off, v[2:3], s15
	s_add_co_i32 s15, s15, 16
	s_cmp_lg_u32 s14, 4
	s_cbranch_scc0 .LBB0_85
.LBB0_65:                               ;   Parent Loop BB0_34 Depth=1
                                        ; =>  This Inner Loop Header: Depth=2
	global_load_b64 v[2:3], v[0:1], off
	s_wait_alu 0xfffe
	s_cmp_lt_i32 s14, 2
	s_mov_b32 s0, -1
                                        ; implicit-def: $vgpr6_vgpr7
	s_wait_loadcnt 0x0
	v_mul_f64_e32 v[2:3], v[32:33], v[2:3]
	s_cbranch_scc1 .LBB0_73
; %bb.66:                               ;   in Loop: Header=BB0_65 Depth=2
	s_cmp_lt_i32 s14, 3
                                        ; implicit-def: $vgpr6_vgpr7
	s_cbranch_scc1 .LBB0_70
; %bb.67:                               ;   in Loop: Header=BB0_65 Depth=2
	s_delay_alu instid0(VALU_DEP_1)
	v_dual_mov_b32 v7, v3 :: v_dual_mov_b32 v6, v2
	s_cmp_eq_u32 s14, 3
	s_cbranch_scc0 .LBB0_69
; %bb.68:                               ;   in Loop: Header=BB0_65 Depth=2
	v_fma_f64 v[6:7], -v[2:3], v[2:3], 0x402e0000
	v_mul_f64_e32 v[8:9], 0xc0180000, v[2:3]
	s_delay_alu instid0(VALU_DEP_2) | instskip(NEXT) | instid1(VALU_DEP_2)
	v_mul_f64_e32 v[6:7], v[2:3], v[6:7]
	v_fma_f64 v[8:9], v[2:3], v[8:9], 0x402e0000
	s_delay_alu instid0(VALU_DEP_1) | instskip(SKIP_1) | instid1(VALU_DEP_2)
	v_div_scale_f64 v[10:11], null, v[8:9], v[8:9], v[6:7]
	v_div_scale_f64 v[36:37], vcc_lo, v[6:7], v[8:9], v[6:7]
	v_rcp_f64_e32 v[12:13], v[10:11]
	s_delay_alu instid0(TRANS32_DEP_1) | instskip(NEXT) | instid1(VALU_DEP_1)
	v_fma_f64 v[14:15], -v[10:11], v[12:13], 1.0
	v_fma_f64 v[12:13], v[12:13], v[14:15], v[12:13]
	s_delay_alu instid0(VALU_DEP_1) | instskip(NEXT) | instid1(VALU_DEP_1)
	v_fma_f64 v[14:15], -v[10:11], v[12:13], 1.0
	v_fma_f64 v[12:13], v[12:13], v[14:15], v[12:13]
	s_delay_alu instid0(VALU_DEP_1) | instskip(NEXT) | instid1(VALU_DEP_1)
	v_mul_f64_e32 v[14:15], v[36:37], v[12:13]
	v_fma_f64 v[10:11], -v[10:11], v[14:15], v[36:37]
	s_wait_alu 0xfffd
	s_delay_alu instid0(VALU_DEP_1) | instskip(NEXT) | instid1(VALU_DEP_1)
	v_div_fmas_f64 v[10:11], v[10:11], v[12:13], v[14:15]
	v_div_fixup_f64 v[6:7], v[10:11], v[8:9], v[6:7]
	s_delay_alu instid0(VALU_DEP_1) | instskip(NEXT) | instid1(VALU_DEP_1)
	v_dual_mov_b32 v8, v6 :: v_dual_and_b32 v9, 0x7fffffff, v7
	v_div_scale_f64 v[10:11], null, v[8:9], v[8:9], 1.0
	v_div_scale_f64 v[36:37], vcc_lo, 1.0, v[8:9], 1.0
	s_delay_alu instid0(VALU_DEP_2) | instskip(NEXT) | instid1(TRANS32_DEP_1)
	v_rcp_f64_e32 v[12:13], v[10:11]
	v_fma_f64 v[14:15], -v[10:11], v[12:13], 1.0
	s_delay_alu instid0(VALU_DEP_1) | instskip(NEXT) | instid1(VALU_DEP_1)
	v_fma_f64 v[12:13], v[12:13], v[14:15], v[12:13]
	v_fma_f64 v[14:15], -v[10:11], v[12:13], 1.0
	s_delay_alu instid0(VALU_DEP_1) | instskip(NEXT) | instid1(VALU_DEP_1)
	v_fma_f64 v[12:13], v[12:13], v[14:15], v[12:13]
	v_mul_f64_e32 v[14:15], v[36:37], v[12:13]
	s_delay_alu instid0(VALU_DEP_1) | instskip(SKIP_1) | instid1(VALU_DEP_1)
	v_fma_f64 v[10:11], -v[10:11], v[14:15], v[36:37]
	s_wait_alu 0xfffd
	v_div_fmas_f64 v[10:11], v[10:11], v[12:13], v[14:15]
	v_cmp_gt_f64_e64 vcc_lo, |v[6:7]|, 1.0
	s_delay_alu instid0(VALU_DEP_2) | instskip(SKIP_1) | instid1(VALU_DEP_1)
	v_div_fixup_f64 v[10:11], v[10:11], |v[6:7]|, 1.0
	s_wait_alu 0xfffd
	v_dual_cndmask_b32 v9, v9, v11 :: v_dual_cndmask_b32 v8, v6, v10
	s_delay_alu instid0(VALU_DEP_1) | instskip(NEXT) | instid1(VALU_DEP_1)
	v_mul_f64_e32 v[10:11], v[8:9], v[8:9]
	v_fma_f64 v[12:13], v[10:11], s[102:103], s[4:5]
	s_delay_alu instid0(VALU_DEP_1) | instskip(NEXT) | instid1(VALU_DEP_1)
	v_fma_f64 v[12:13], v[10:11], v[12:13], s[100:101]
	v_fma_f64 v[12:13], v[10:11], v[12:13], s[28:29]
	s_delay_alu instid0(VALU_DEP_1) | instskip(NEXT) | instid1(VALU_DEP_1)
	v_fma_f64 v[12:13], v[10:11], v[12:13], s[30:31]
	;; [unrolled: 3-line block ×9, first 2 shown]
	v_fma_f64 v[12:13], v[10:11], v[12:13], s[62:63]
	s_delay_alu instid0(VALU_DEP_1) | instskip(NEXT) | instid1(VALU_DEP_1)
	v_mul_f64_e32 v[10:11], v[10:11], v[12:13]
	v_fma_f64 v[8:9], v[8:9], v[10:11], v[8:9]
	s_delay_alu instid0(VALU_DEP_1) | instskip(NEXT) | instid1(VALU_DEP_1)
	v_fma_f64 v[10:11], s[66:67], s[64:65], -v[8:9]
	v_dual_cndmask_b32 v9, v9, v11 :: v_dual_cndmask_b32 v6, v8, v10
	s_delay_alu instid0(VALU_DEP_1) | instskip(NEXT) | instid1(VALU_DEP_1)
	v_bfi_b32 v7, 0x7fffffff, v9, v7
	v_add_f64_e64 v[6:7], v[2:3], -v[6:7]
.LBB0_69:                               ;   in Loop: Header=BB0_65 Depth=2
	s_mov_b32 s0, 0
.LBB0_70:                               ;   in Loop: Header=BB0_65 Depth=2
	s_wait_alu 0xfffe
	s_and_not1_b32 vcc_lo, exec_lo, s0
	s_wait_alu 0xfffe
	s_cbranch_vccnz .LBB0_72
; %bb.71:                               ;   in Loop: Header=BB0_65 Depth=2
	s_delay_alu instid0(VALU_DEP_1) | instskip(SKIP_1) | instid1(VALU_DEP_1)
	v_mul_f64_e32 v[6:7], 0x40080000, v[2:3]
	v_fma_f64 v[8:9], -v[2:3], v[2:3], 0x40080000
	v_div_scale_f64 v[10:11], null, v[8:9], v[8:9], v[6:7]
	v_div_scale_f64 v[36:37], vcc_lo, v[6:7], v[8:9], v[6:7]
	s_delay_alu instid0(VALU_DEP_2) | instskip(NEXT) | instid1(TRANS32_DEP_1)
	v_rcp_f64_e32 v[12:13], v[10:11]
	v_fma_f64 v[14:15], -v[10:11], v[12:13], 1.0
	s_delay_alu instid0(VALU_DEP_1) | instskip(NEXT) | instid1(VALU_DEP_1)
	v_fma_f64 v[12:13], v[12:13], v[14:15], v[12:13]
	v_fma_f64 v[14:15], -v[10:11], v[12:13], 1.0
	s_delay_alu instid0(VALU_DEP_1) | instskip(NEXT) | instid1(VALU_DEP_1)
	v_fma_f64 v[12:13], v[12:13], v[14:15], v[12:13]
	v_mul_f64_e32 v[14:15], v[36:37], v[12:13]
	s_delay_alu instid0(VALU_DEP_1) | instskip(SKIP_1) | instid1(VALU_DEP_1)
	v_fma_f64 v[10:11], -v[10:11], v[14:15], v[36:37]
	s_wait_alu 0xfffd
	v_div_fmas_f64 v[10:11], v[10:11], v[12:13], v[14:15]
	s_delay_alu instid0(VALU_DEP_1) | instskip(NEXT) | instid1(VALU_DEP_1)
	v_div_fixup_f64 v[6:7], v[10:11], v[8:9], v[6:7]
	v_dual_mov_b32 v8, v6 :: v_dual_and_b32 v9, 0x7fffffff, v7
	s_delay_alu instid0(VALU_DEP_1) | instskip(SKIP_1) | instid1(VALU_DEP_2)
	v_div_scale_f64 v[10:11], null, v[8:9], v[8:9], 1.0
	v_div_scale_f64 v[36:37], vcc_lo, 1.0, v[8:9], 1.0
	v_rcp_f64_e32 v[12:13], v[10:11]
	s_delay_alu instid0(TRANS32_DEP_1) | instskip(NEXT) | instid1(VALU_DEP_1)
	v_fma_f64 v[14:15], -v[10:11], v[12:13], 1.0
	v_fma_f64 v[12:13], v[12:13], v[14:15], v[12:13]
	s_delay_alu instid0(VALU_DEP_1) | instskip(NEXT) | instid1(VALU_DEP_1)
	v_fma_f64 v[14:15], -v[10:11], v[12:13], 1.0
	v_fma_f64 v[12:13], v[12:13], v[14:15], v[12:13]
	s_delay_alu instid0(VALU_DEP_1) | instskip(NEXT) | instid1(VALU_DEP_1)
	v_mul_f64_e32 v[14:15], v[36:37], v[12:13]
	v_fma_f64 v[10:11], -v[10:11], v[14:15], v[36:37]
	s_wait_alu 0xfffd
	s_delay_alu instid0(VALU_DEP_1) | instskip(SKIP_1) | instid1(VALU_DEP_2)
	v_div_fmas_f64 v[10:11], v[10:11], v[12:13], v[14:15]
	v_cmp_gt_f64_e64 vcc_lo, |v[6:7]|, 1.0
	v_div_fixup_f64 v[10:11], v[10:11], |v[6:7]|, 1.0
	s_wait_alu 0xfffd
	s_delay_alu instid0(VALU_DEP_1) | instskip(NEXT) | instid1(VALU_DEP_1)
	v_dual_cndmask_b32 v9, v9, v11 :: v_dual_cndmask_b32 v8, v6, v10
	v_mul_f64_e32 v[10:11], v[8:9], v[8:9]
	s_delay_alu instid0(VALU_DEP_1) | instskip(NEXT) | instid1(VALU_DEP_1)
	v_fma_f64 v[12:13], v[10:11], s[102:103], s[4:5]
	v_fma_f64 v[12:13], v[10:11], v[12:13], s[100:101]
	s_delay_alu instid0(VALU_DEP_1) | instskip(NEXT) | instid1(VALU_DEP_1)
	v_fma_f64 v[12:13], v[10:11], v[12:13], s[28:29]
	v_fma_f64 v[12:13], v[10:11], v[12:13], s[30:31]
	;; [unrolled: 3-line block ×9, first 2 shown]
	s_delay_alu instid0(VALU_DEP_1) | instskip(NEXT) | instid1(VALU_DEP_1)
	v_fma_f64 v[12:13], v[10:11], v[12:13], s[62:63]
	v_mul_f64_e32 v[10:11], v[10:11], v[12:13]
	s_delay_alu instid0(VALU_DEP_1) | instskip(NEXT) | instid1(VALU_DEP_1)
	v_fma_f64 v[8:9], v[8:9], v[10:11], v[8:9]
	v_fma_f64 v[10:11], s[66:67], s[64:65], -v[8:9]
	s_delay_alu instid0(VALU_DEP_1) | instskip(NEXT) | instid1(VALU_DEP_1)
	v_dual_cndmask_b32 v9, v9, v11 :: v_dual_cndmask_b32 v6, v8, v10
	v_bfi_b32 v7, 0x7fffffff, v9, v7
	s_delay_alu instid0(VALU_DEP_1)
	v_add_f64_e64 v[6:7], v[2:3], -v[6:7]
.LBB0_72:                               ;   in Loop: Header=BB0_65 Depth=2
	s_mov_b32 s0, 0
.LBB0_73:                               ;   in Loop: Header=BB0_65 Depth=2
	s_wait_alu 0xfffe
	s_and_not1_b32 vcc_lo, exec_lo, s0
	s_wait_alu 0xfffe
	s_cbranch_vccnz .LBB0_77
; %bb.74:                               ;   in Loop: Header=BB0_65 Depth=2
	s_cmp_lg_u32 s14, 1
	s_cbranch_scc1 .LBB0_76
; %bb.75:                               ;   in Loop: Header=BB0_65 Depth=2
	s_delay_alu instid0(VALU_DEP_1) | instskip(NEXT) | instid1(VALU_DEP_1)
	v_dual_mov_b32 v6, v2 :: v_dual_and_b32 v7, 0x7fffffff, v3
	v_div_scale_f64 v[8:9], null, v[6:7], v[6:7], 1.0
	v_div_scale_f64 v[14:15], vcc_lo, 1.0, v[6:7], 1.0
	s_delay_alu instid0(VALU_DEP_2) | instskip(NEXT) | instid1(TRANS32_DEP_1)
	v_rcp_f64_e32 v[10:11], v[8:9]
	v_fma_f64 v[12:13], -v[8:9], v[10:11], 1.0
	s_delay_alu instid0(VALU_DEP_1) | instskip(NEXT) | instid1(VALU_DEP_1)
	v_fma_f64 v[10:11], v[10:11], v[12:13], v[10:11]
	v_fma_f64 v[12:13], -v[8:9], v[10:11], 1.0
	s_delay_alu instid0(VALU_DEP_1) | instskip(NEXT) | instid1(VALU_DEP_1)
	v_fma_f64 v[10:11], v[10:11], v[12:13], v[10:11]
	v_mul_f64_e32 v[12:13], v[14:15], v[10:11]
	s_delay_alu instid0(VALU_DEP_1) | instskip(SKIP_1) | instid1(VALU_DEP_1)
	v_fma_f64 v[8:9], -v[8:9], v[12:13], v[14:15]
	s_wait_alu 0xfffd
	v_div_fmas_f64 v[8:9], v[8:9], v[10:11], v[12:13]
	v_cmp_gt_f64_e64 vcc_lo, |v[2:3]|, 1.0
	s_delay_alu instid0(VALU_DEP_2) | instskip(SKIP_1) | instid1(VALU_DEP_1)
	v_div_fixup_f64 v[8:9], v[8:9], |v[2:3]|, 1.0
	s_wait_alu 0xfffd
	v_dual_cndmask_b32 v7, v7, v9 :: v_dual_cndmask_b32 v6, v2, v8
	s_delay_alu instid0(VALU_DEP_1) | instskip(NEXT) | instid1(VALU_DEP_1)
	v_mul_f64_e32 v[8:9], v[6:7], v[6:7]
	v_fma_f64 v[10:11], v[8:9], s[102:103], s[4:5]
	s_delay_alu instid0(VALU_DEP_1) | instskip(NEXT) | instid1(VALU_DEP_1)
	v_fma_f64 v[10:11], v[8:9], v[10:11], s[100:101]
	v_fma_f64 v[10:11], v[8:9], v[10:11], s[28:29]
	s_delay_alu instid0(VALU_DEP_1) | instskip(NEXT) | instid1(VALU_DEP_1)
	v_fma_f64 v[10:11], v[8:9], v[10:11], s[30:31]
	;; [unrolled: 3-line block ×9, first 2 shown]
	v_fma_f64 v[10:11], v[8:9], v[10:11], s[62:63]
	s_delay_alu instid0(VALU_DEP_1) | instskip(NEXT) | instid1(VALU_DEP_1)
	v_mul_f64_e32 v[8:9], v[8:9], v[10:11]
	v_fma_f64 v[6:7], v[6:7], v[8:9], v[6:7]
	s_delay_alu instid0(VALU_DEP_1) | instskip(NEXT) | instid1(VALU_DEP_1)
	v_fma_f64 v[8:9], s[66:67], s[64:65], -v[6:7]
	v_dual_cndmask_b32 v7, v7, v9 :: v_dual_cndmask_b32 v6, v6, v8
	s_delay_alu instid0(VALU_DEP_1) | instskip(NEXT) | instid1(VALU_DEP_1)
	v_bfi_b32 v7, 0x7fffffff, v7, v3
	v_add_f64_e32 v[2:3], v[2:3], v[6:7]
.LBB0_76:                               ;   in Loop: Header=BB0_65 Depth=2
	s_delay_alu instid0(VALU_DEP_1)
	v_dual_mov_b32 v7, v3 :: v_dual_mov_b32 v6, v2
.LBB0_77:                               ;   in Loop: Header=BB0_65 Depth=2
	s_delay_alu instid0(VALU_DEP_1) | instskip(NEXT) | instid1(VALU_DEP_1)
	v_add_f64_e32 v[2:3], v[6:7], v[6:7]
                                        ; implicit-def: $vgpr23
                                        ; implicit-def: $vgpr14_vgpr15
                                        ; implicit-def: $vgpr36_vgpr37
	v_cmp_ngt_f64_e64 s22, 0x41d00000, |v[2:3]|
	v_trig_preop_f64 v[10:11], |v[2:3]|, 0
	v_trig_preop_f64 v[6:7], |v[2:3]|, 1
	v_ldexp_f64 v[12:13], |v[2:3]|, 0xffffff80
	v_trig_preop_f64 v[8:9], |v[2:3]|, 2
	v_and_b32_e32 v38, 0x7fffffff, v3
	s_and_saveexec_b32 s0, s22
	s_wait_alu 0xfffe
	s_xor_b32 s0, exec_lo, s0
	s_cbranch_execz .LBB0_79
; %bb.78:                               ;   in Loop: Header=BB0_65 Depth=2
	v_cmp_le_f64_e64 vcc_lo, 0x7b000000, |v[2:3]|
	s_wait_alu 0xfffd
	s_delay_alu instid0(VALU_DEP_4) | instskip(SKIP_1) | instid1(VALU_DEP_1)
	v_cndmask_b32_e32 v15, v38, v13, vcc_lo
	v_cndmask_b32_e32 v14, v2, v12, vcc_lo
	v_mul_f64_e32 v[36:37], v[10:11], v[14:15]
	v_mul_f64_e32 v[41:42], v[6:7], v[14:15]
	s_delay_alu instid0(VALU_DEP_2) | instskip(NEXT) | instid1(VALU_DEP_1)
	v_fma_f64 v[43:44], v[10:11], v[14:15], -v[36:37]
	v_add_f64_e32 v[45:46], v[41:42], v[43:44]
	s_delay_alu instid0(VALU_DEP_1) | instskip(NEXT) | instid1(VALU_DEP_1)
	v_add_f64_e64 v[47:48], v[45:46], -v[41:42]
	v_add_f64_e64 v[43:44], v[43:44], -v[47:48]
	;; [unrolled: 1-line block ×3, first 2 shown]
	s_delay_alu instid0(VALU_DEP_1) | instskip(SKIP_1) | instid1(VALU_DEP_2)
	v_add_f64_e64 v[47:48], v[41:42], -v[47:48]
	v_fma_f64 v[41:42], v[6:7], v[14:15], -v[41:42]
	v_add_f64_e32 v[43:44], v[43:44], v[47:48]
	v_mul_f64_e32 v[47:48], v[8:9], v[14:15]
	s_delay_alu instid0(VALU_DEP_1) | instskip(NEXT) | instid1(VALU_DEP_1)
	v_add_f64_e32 v[49:50], v[47:48], v[41:42]
	v_add_f64_e64 v[51:52], v[49:50], -v[47:48]
	s_delay_alu instid0(VALU_DEP_1) | instskip(SKIP_1) | instid1(VALU_DEP_1)
	v_add_f64_e64 v[41:42], v[41:42], -v[51:52]
	v_add_f64_e64 v[51:52], v[49:50], -v[51:52]
	;; [unrolled: 1-line block ×3, first 2 shown]
	s_delay_alu instid0(VALU_DEP_1) | instskip(SKIP_1) | instid1(VALU_DEP_1)
	v_add_f64_e32 v[41:42], v[41:42], v[51:52]
	v_add_f64_e32 v[51:52], v[49:50], v[43:44]
	v_add_f64_e64 v[53:54], v[51:52], -v[49:50]
	s_delay_alu instid0(VALU_DEP_1) | instskip(SKIP_1) | instid1(VALU_DEP_1)
	v_add_f64_e64 v[43:44], v[43:44], -v[53:54]
	v_add_f64_e64 v[53:54], v[51:52], -v[53:54]
	;; [unrolled: 1-line block ×3, first 2 shown]
	v_add_f64_e32 v[53:54], v[36:37], v[45:46]
	s_delay_alu instid0(VALU_DEP_2) | instskip(NEXT) | instid1(VALU_DEP_2)
	v_add_f64_e32 v[43:44], v[43:44], v[49:50]
	v_add_f64_e64 v[36:37], v[53:54], -v[36:37]
	v_ldexp_f64 v[53:54], v[53:54], -2
	s_delay_alu instid0(VALU_DEP_3) | instskip(NEXT) | instid1(VALU_DEP_3)
	v_add_f64_e32 v[41:42], v[41:42], v[43:44]
	v_add_f64_e64 v[36:37], v[45:46], -v[36:37]
	s_delay_alu instid0(VALU_DEP_3) | instskip(SKIP_1) | instid1(VALU_DEP_3)
	v_fract_f64_e32 v[55:56], v[53:54]
	v_cmp_neq_f64_e64 vcc_lo, 0x7ff00000, |v[53:54]|
	v_add_f64_e32 v[43:44], v[36:37], v[51:52]
	s_delay_alu instid0(VALU_DEP_3) | instskip(NEXT) | instid1(VALU_DEP_2)
	v_ldexp_f64 v[55:56], v[55:56], 2
	v_add_f64_e64 v[36:37], v[43:44], -v[36:37]
	s_wait_alu 0xfffd
	s_delay_alu instid0(VALU_DEP_2) | instskip(SKIP_1) | instid1(VALU_DEP_3)
	v_dual_cndmask_b32 v46, 0, v56 :: v_dual_cndmask_b32 v45, 0, v55
	v_fma_f64 v[14:15], v[8:9], v[14:15], -v[47:48]
	v_add_f64_e64 v[36:37], v[51:52], -v[36:37]
	s_delay_alu instid0(VALU_DEP_2) | instskip(NEXT) | instid1(VALU_DEP_4)
	v_add_f64_e32 v[14:15], v[14:15], v[41:42]
	v_add_f64_e32 v[41:42], v[43:44], v[45:46]
	s_delay_alu instid0(VALU_DEP_2) | instskip(NEXT) | instid1(VALU_DEP_2)
	v_add_f64_e32 v[14:15], v[36:37], v[14:15]
	v_cmp_gt_f64_e32 vcc_lo, 0, v[41:42]
	s_wait_alu 0xfffd
	v_cndmask_b32_e64 v23, 0, 0x40100000, vcc_lo
	s_delay_alu instid0(VALU_DEP_1) | instskip(NEXT) | instid1(VALU_DEP_1)
	v_add_f64_e32 v[41:42], v[45:46], v[22:23]
	v_add_f64_e32 v[45:46], v[43:44], v[41:42]
	s_delay_alu instid0(VALU_DEP_1) | instskip(NEXT) | instid1(VALU_DEP_1)
	v_cvt_i32_f64_e32 v39, v[45:46]
	v_cvt_f64_i32_e32 v[45:46], v39
	s_delay_alu instid0(VALU_DEP_1) | instskip(NEXT) | instid1(VALU_DEP_1)
	v_add_f64_e64 v[41:42], v[41:42], -v[45:46]
	v_add_f64_e32 v[36:37], v[43:44], v[41:42]
	s_delay_alu instid0(VALU_DEP_1) | instskip(SKIP_1) | instid1(VALU_DEP_2)
	v_add_f64_e64 v[41:42], v[36:37], -v[41:42]
	v_cmp_le_f64_e32 vcc_lo, 0.5, v[36:37]
	v_add_f64_e64 v[41:42], v[43:44], -v[41:42]
	s_wait_alu 0xfffd
	v_cndmask_b32_e64 v23, 0, 0x3ff00000, vcc_lo
	s_delay_alu instid0(VALU_DEP_1) | instskip(SKIP_1) | instid1(VALU_DEP_4)
	v_add_f64_e64 v[36:37], v[36:37], -v[22:23]
	v_add_co_ci_u32_e64 v23, null, 0, v39, vcc_lo
	v_add_f64_e32 v[14:15], v[14:15], v[41:42]
	s_delay_alu instid0(VALU_DEP_1) | instskip(NEXT) | instid1(VALU_DEP_1)
	v_add_f64_e32 v[41:42], v[36:37], v[14:15]
	v_add_f64_e64 v[36:37], v[41:42], -v[36:37]
	s_delay_alu instid0(VALU_DEP_1) | instskip(SKIP_1) | instid1(VALU_DEP_1)
	v_add_f64_e64 v[14:15], v[14:15], -v[36:37]
	v_mul_f64_e32 v[36:37], s[68:69], v[41:42]
	v_fma_f64 v[43:44], v[41:42], s[68:69], -v[36:37]
	s_delay_alu instid0(VALU_DEP_1) | instskip(NEXT) | instid1(VALU_DEP_1)
	v_fma_f64 v[41:42], v[41:42], s[16:17], v[43:44]
	v_fma_f64 v[41:42], v[14:15], s[68:69], v[41:42]
	s_delay_alu instid0(VALU_DEP_1) | instskip(NEXT) | instid1(VALU_DEP_1)
	v_add_f64_e32 v[14:15], v[36:37], v[41:42]
	v_add_f64_e64 v[36:37], v[14:15], -v[36:37]
	s_delay_alu instid0(VALU_DEP_1)
	v_add_f64_e64 v[36:37], v[41:42], -v[36:37]
.LBB0_79:                               ;   in Loop: Header=BB0_65 Depth=2
	s_wait_alu 0xfffe
	s_and_not1_saveexec_b32 s12, s0
	s_cbranch_execz .LBB0_81
; %bb.80:                               ;   in Loop: Header=BB0_65 Depth=2
	v_mul_f64_e64 v[14:15], |v[2:3]|, s[72:73]
	s_mov_b32 s0, s68
	s_mov_b32 vcc_lo, s74
	s_mov_b32 vcc_hi, s17
	s_delay_alu instid0(VALU_DEP_1) | instskip(SKIP_1) | instid1(VALU_DEP_1)
	v_rndne_f64_e32 v[41:42], v[14:15]
	s_wait_alu 0xfffe
	v_fma_f64 v[14:15], v[41:42], s[0:1], |v[2:3]|
	v_mul_f64_e32 v[36:37], s[74:75], v[41:42]
	v_cvt_i32_f64_e32 v23, v[41:42]
	s_delay_alu instid0(VALU_DEP_3) | instskip(NEXT) | instid1(VALU_DEP_3)
	v_fma_f64 v[45:46], v[41:42], s[74:75], v[14:15]
	v_add_f64_e32 v[43:44], v[14:15], v[36:37]
	s_delay_alu instid0(VALU_DEP_1) | instskip(NEXT) | instid1(VALU_DEP_3)
	v_add_f64_e64 v[14:15], v[14:15], -v[43:44]
	v_add_f64_e64 v[43:44], v[43:44], -v[45:46]
	s_delay_alu instid0(VALU_DEP_2) | instskip(SKIP_1) | instid1(VALU_DEP_2)
	v_add_f64_e32 v[14:15], v[14:15], v[36:37]
	v_fma_f64 v[36:37], v[41:42], vcc, v[36:37]
	v_add_f64_e32 v[14:15], v[43:44], v[14:15]
	s_delay_alu instid0(VALU_DEP_1) | instskip(NEXT) | instid1(VALU_DEP_1)
	v_add_f64_e64 v[14:15], v[14:15], -v[36:37]
	v_fma_f64 v[36:37], v[41:42], s[76:77], v[14:15]
	s_delay_alu instid0(VALU_DEP_1) | instskip(NEXT) | instid1(VALU_DEP_1)
	v_add_f64_e32 v[14:15], v[45:46], v[36:37]
	v_add_f64_e64 v[43:44], v[14:15], -v[45:46]
	s_delay_alu instid0(VALU_DEP_1)
	v_add_f64_e64 v[36:37], v[36:37], -v[43:44]
.LBB0_81:                               ;   in Loop: Header=BB0_65 Depth=2
	s_wait_alu 0xfffe
	s_or_b32 exec_lo, exec_lo, s12
	v_mul_f64_e32 v[41:42], v[14:15], v[14:15]
	s_delay_alu instid0(VALU_DEP_2) | instskip(SKIP_1) | instid1(VALU_DEP_2)
	v_mul_f64_e32 v[51:52], 0.5, v[36:37]
	s_mov_b32 s12, s88
	v_mul_f64_e32 v[43:44], 0.5, v[41:42]
	v_fma_f64 v[45:46], v[41:42], s[92:93], s[90:91]
	s_delay_alu instid0(VALU_DEP_2) | instskip(NEXT) | instid1(VALU_DEP_2)
	v_add_f64_e64 v[47:48], -v[43:44], 1.0
	v_fma_f64 v[45:46], v[41:42], v[45:46], s[94:95]
	s_delay_alu instid0(VALU_DEP_2) | instskip(NEXT) | instid1(VALU_DEP_2)
	v_add_f64_e64 v[49:50], -v[47:48], 1.0
	v_fma_f64 v[45:46], v[41:42], v[45:46], s[96:97]
	s_delay_alu instid0(VALU_DEP_2) | instskip(SKIP_1) | instid1(VALU_DEP_3)
	v_add_f64_e64 v[43:44], v[49:50], -v[43:44]
	v_mul_f64_e64 v[49:50], v[14:15], -v[41:42]
	v_fma_f64 v[45:46], v[41:42], v[45:46], s[98:99]
	s_delay_alu instid0(VALU_DEP_1) | instskip(SKIP_1) | instid1(VALU_DEP_2)
	v_fma_f64 v[45:46], v[49:50], v[45:46], v[51:52]
	v_fma_f64 v[51:52], v[41:42], s[80:81], s[78:79]
	v_fma_f64 v[45:46], v[41:42], v[45:46], -v[36:37]
	s_delay_alu instid0(VALU_DEP_2) | instskip(SKIP_3) | instid1(VALU_DEP_4)
	v_fma_f64 v[51:52], v[41:42], v[51:52], s[82:83]
	v_fma_f64 v[36:37], v[14:15], -v[36:37], v[43:44]
	v_mul_f64_e32 v[43:44], v[41:42], v[41:42]
	s_wait_alu 0xfffe
	v_fma_f64 v[45:46], v[49:50], s[12:13], v[45:46]
	s_delay_alu instid0(VALU_DEP_4) | instskip(NEXT) | instid1(VALU_DEP_2)
	v_fma_f64 v[51:52], v[41:42], v[51:52], s[84:85]
	v_add_f64_e64 v[14:15], v[14:15], -v[45:46]
	s_delay_alu instid0(VALU_DEP_2) | instskip(NEXT) | instid1(VALU_DEP_2)
	v_fma_f64 v[51:52], v[41:42], v[51:52], s[86:87]
	v_xor_b32_e32 v15, 0x80000000, v15
	s_delay_alu instid0(VALU_DEP_2) | instskip(NEXT) | instid1(VALU_DEP_1)
	v_fma_f64 v[41:42], v[41:42], v[51:52], s[88:89]
	v_fma_f64 v[36:37], v[43:44], v[41:42], v[36:37]
	s_delay_alu instid0(VALU_DEP_1) | instskip(SKIP_2) | instid1(VALU_DEP_2)
	v_add_f64_e32 v[36:37], v[47:48], v[36:37]
	v_and_b32_e32 v39, 1, v23
	v_lshlrev_b32_e32 v23, 30, v23
	v_cmp_eq_u32_e32 vcc_lo, 0, v39
	s_wait_alu 0xfffd
	s_delay_alu instid0(VALU_DEP_2) | instskip(SKIP_3) | instid1(VALU_DEP_3)
	v_dual_cndmask_b32 v14, v14, v36 :: v_dual_and_b32 v23, 0x80000000, v23
	v_cndmask_b32_e32 v15, v15, v37, vcc_lo
	v_cmp_class_f64_e64 vcc_lo, v[2:3], 0x1f8
                                        ; implicit-def: $vgpr36_vgpr37
	s_wait_alu 0xfffd
	v_cndmask_b32_e32 v14, 0, v14, vcc_lo
	s_delay_alu instid0(VALU_DEP_3) | instskip(NEXT) | instid1(VALU_DEP_1)
	v_xor_b32_e32 v15, v15, v23
                                        ; implicit-def: $vgpr23
	v_cndmask_b32_e32 v15, 0x7ff80000, v15, vcc_lo
	scratch_store_b64 off, v[14:15], s15 offset:-8
                                        ; implicit-def: $vgpr14_vgpr15
	s_and_saveexec_b32 s0, s22
	s_wait_alu 0xfffe
	s_xor_b32 s12, exec_lo, s0
	s_cbranch_execz .LBB0_83
; %bb.82:                               ;   in Loop: Header=BB0_65 Depth=2
	v_cmp_le_f64_e64 s0, 0x7b000000, |v[2:3]|
	s_wait_alu 0xf1ff
	s_delay_alu instid0(VALU_DEP_1) | instskip(SKIP_1) | instid1(VALU_DEP_1)
	v_cndmask_b32_e64 v13, v38, v13, s0
	v_cndmask_b32_e64 v12, v2, v12, s0
	v_mul_f64_e32 v[14:15], v[10:11], v[12:13]
	v_mul_f64_e32 v[36:37], v[6:7], v[12:13]
	v_mul_f64_e32 v[38:39], v[8:9], v[12:13]
	s_delay_alu instid0(VALU_DEP_3) | instskip(NEXT) | instid1(VALU_DEP_3)
	v_fma_f64 v[10:11], v[10:11], v[12:13], -v[14:15]
	v_fma_f64 v[6:7], v[6:7], v[12:13], -v[36:37]
	s_delay_alu instid0(VALU_DEP_3) | instskip(NEXT) | instid1(VALU_DEP_3)
	v_fma_f64 v[8:9], v[8:9], v[12:13], -v[38:39]
	v_add_f64_e32 v[41:42], v[36:37], v[10:11]
	s_delay_alu instid0(VALU_DEP_1) | instskip(NEXT) | instid1(VALU_DEP_1)
	v_add_f64_e64 v[12:13], v[41:42], -v[36:37]
	v_add_f64_e64 v[10:11], v[10:11], -v[12:13]
	;; [unrolled: 1-line block ×3, first 2 shown]
	s_delay_alu instid0(VALU_DEP_1) | instskip(SKIP_1) | instid1(VALU_DEP_2)
	v_add_f64_e64 v[12:13], v[36:37], -v[12:13]
	v_add_f64_e32 v[36:37], v[38:39], v[6:7]
	v_add_f64_e32 v[10:11], v[10:11], v[12:13]
	s_delay_alu instid0(VALU_DEP_2) | instskip(NEXT) | instid1(VALU_DEP_1)
	v_add_f64_e64 v[43:44], v[36:37], -v[38:39]
	v_add_f64_e64 v[6:7], v[6:7], -v[43:44]
	;; [unrolled: 1-line block ×3, first 2 shown]
	s_delay_alu instid0(VALU_DEP_1) | instskip(SKIP_1) | instid1(VALU_DEP_2)
	v_add_f64_e64 v[38:39], v[38:39], -v[43:44]
	v_add_f64_e32 v[43:44], v[14:15], v[41:42]
	v_add_f64_e32 v[6:7], v[6:7], v[38:39]
	s_delay_alu instid0(VALU_DEP_2) | instskip(NEXT) | instid1(VALU_DEP_1)
	v_add_f64_e64 v[14:15], v[43:44], -v[14:15]
	v_add_f64_e64 v[14:15], v[41:42], -v[14:15]
	v_ldexp_f64 v[41:42], v[43:44], -2
	s_delay_alu instid0(VALU_DEP_1) | instskip(SKIP_2) | instid1(VALU_DEP_3)
	v_fract_f64_e32 v[12:13], v[41:42]
	v_cmp_neq_f64_e64 s0, 0x7ff00000, |v[41:42]|
	v_add_f64_e32 v[41:42], v[36:37], v[10:11]
	v_ldexp_f64 v[12:13], v[12:13], 2
	s_delay_alu instid0(VALU_DEP_2) | instskip(SKIP_1) | instid1(VALU_DEP_2)
	v_add_f64_e64 v[38:39], v[41:42], -v[36:37]
	s_wait_alu 0xf1ff
	v_cndmask_b32_e64 v13, 0, v13, s0
	s_delay_alu instid0(VALU_DEP_3) | instskip(NEXT) | instid1(VALU_DEP_3)
	v_cndmask_b32_e64 v12, 0, v12, s0
	v_add_f64_e64 v[10:11], v[10:11], -v[38:39]
	v_add_f64_e64 v[38:39], v[41:42], -v[38:39]
	s_delay_alu instid0(VALU_DEP_1) | instskip(SKIP_1) | instid1(VALU_DEP_2)
	v_add_f64_e64 v[36:37], v[36:37], -v[38:39]
	v_add_f64_e32 v[38:39], v[14:15], v[41:42]
	v_add_f64_e32 v[10:11], v[10:11], v[36:37]
	s_delay_alu instid0(VALU_DEP_2) | instskip(SKIP_1) | instid1(VALU_DEP_3)
	v_add_f64_e32 v[43:44], v[38:39], v[12:13]
	v_add_f64_e64 v[14:15], v[38:39], -v[14:15]
	v_add_f64_e32 v[6:7], v[6:7], v[10:11]
	s_delay_alu instid0(VALU_DEP_3) | instskip(NEXT) | instid1(VALU_DEP_3)
	v_cmp_gt_f64_e64 s0, 0, v[43:44]
	v_add_f64_e64 v[14:15], v[41:42], -v[14:15]
	s_delay_alu instid0(VALU_DEP_3) | instskip(SKIP_1) | instid1(VALU_DEP_3)
	v_add_f64_e32 v[6:7], v[8:9], v[6:7]
	s_wait_alu 0xf1ff
	v_cndmask_b32_e64 v23, 0, 0x40100000, s0
	s_delay_alu instid0(VALU_DEP_1) | instskip(NEXT) | instid1(VALU_DEP_3)
	v_add_f64_e32 v[12:13], v[12:13], v[22:23]
	v_add_f64_e32 v[6:7], v[14:15], v[6:7]
	s_delay_alu instid0(VALU_DEP_2) | instskip(NEXT) | instid1(VALU_DEP_1)
	v_add_f64_e32 v[36:37], v[38:39], v[12:13]
	v_cvt_i32_f64_e32 v43, v[36:37]
	s_delay_alu instid0(VALU_DEP_1) | instskip(NEXT) | instid1(VALU_DEP_1)
	v_cvt_f64_i32_e32 v[36:37], v43
	v_add_f64_e64 v[12:13], v[12:13], -v[36:37]
	s_delay_alu instid0(VALU_DEP_1) | instskip(NEXT) | instid1(VALU_DEP_1)
	v_add_f64_e32 v[10:11], v[38:39], v[12:13]
	v_add_f64_e64 v[8:9], v[10:11], -v[12:13]
	v_cmp_le_f64_e64 s0, 0.5, v[10:11]
	s_delay_alu instid0(VALU_DEP_2) | instskip(SKIP_1) | instid1(VALU_DEP_2)
	v_add_f64_e64 v[8:9], v[38:39], -v[8:9]
	s_wait_alu 0xf1ff
	v_cndmask_b32_e64 v23, 0, 0x3ff00000, s0
	s_delay_alu instid0(VALU_DEP_1) | instskip(SKIP_1) | instid1(VALU_DEP_4)
	v_add_f64_e64 v[10:11], v[10:11], -v[22:23]
	v_add_co_ci_u32_e64 v23, null, 0, v43, s0
	v_add_f64_e32 v[6:7], v[6:7], v[8:9]
	s_delay_alu instid0(VALU_DEP_1) | instskip(NEXT) | instid1(VALU_DEP_1)
	v_add_f64_e32 v[8:9], v[10:11], v[6:7]
	v_mul_f64_e32 v[12:13], s[68:69], v[8:9]
	v_add_f64_e64 v[10:11], v[8:9], -v[10:11]
	s_delay_alu instid0(VALU_DEP_2) | instskip(NEXT) | instid1(VALU_DEP_2)
	v_fma_f64 v[14:15], v[8:9], s[68:69], -v[12:13]
	v_add_f64_e64 v[6:7], v[6:7], -v[10:11]
	s_delay_alu instid0(VALU_DEP_2) | instskip(NEXT) | instid1(VALU_DEP_1)
	v_fma_f64 v[8:9], v[8:9], s[16:17], v[14:15]
	v_fma_f64 v[6:7], v[6:7], s[68:69], v[8:9]
	s_delay_alu instid0(VALU_DEP_1) | instskip(NEXT) | instid1(VALU_DEP_1)
	v_add_f64_e32 v[14:15], v[12:13], v[6:7]
	v_add_f64_e64 v[8:9], v[14:15], -v[12:13]
	s_delay_alu instid0(VALU_DEP_1)
	v_add_f64_e64 v[36:37], v[6:7], -v[8:9]
.LBB0_83:                               ;   in Loop: Header=BB0_65 Depth=2
	s_wait_alu 0xfffe
	s_and_not1_saveexec_b32 s12, s12
	s_cbranch_execz .LBB0_64
; %bb.84:                               ;   in Loop: Header=BB0_65 Depth=2
	v_mul_f64_e64 v[6:7], |v[2:3]|, s[72:73]
	s_mov_b32 s0, s68
	s_mov_b32 s22, s74
	;; [unrolled: 1-line block ×3, first 2 shown]
	s_delay_alu instid0(VALU_DEP_1) | instskip(SKIP_1) | instid1(VALU_DEP_1)
	v_rndne_f64_e32 v[6:7], v[6:7]
	s_wait_alu 0xfffe
	v_fma_f64 v[8:9], v[6:7], s[0:1], |v[2:3]|
	v_mul_f64_e32 v[10:11], s[74:75], v[6:7]
	v_cvt_i32_f64_e32 v23, v[6:7]
	s_delay_alu instid0(VALU_DEP_3) | instskip(NEXT) | instid1(VALU_DEP_3)
	v_fma_f64 v[36:37], v[6:7], s[74:75], v[8:9]
	v_add_f64_e32 v[12:13], v[8:9], v[10:11]
	s_delay_alu instid0(VALU_DEP_1) | instskip(NEXT) | instid1(VALU_DEP_3)
	v_add_f64_e64 v[8:9], v[8:9], -v[12:13]
	v_add_f64_e64 v[12:13], v[12:13], -v[36:37]
	s_delay_alu instid0(VALU_DEP_2) | instskip(SKIP_1) | instid1(VALU_DEP_2)
	v_add_f64_e32 v[8:9], v[8:9], v[10:11]
	v_fma_f64 v[10:11], v[6:7], s[22:23], v[10:11]
	v_add_f64_e32 v[8:9], v[12:13], v[8:9]
	s_delay_alu instid0(VALU_DEP_1) | instskip(NEXT) | instid1(VALU_DEP_1)
	v_add_f64_e64 v[8:9], v[8:9], -v[10:11]
	v_fma_f64 v[8:9], v[6:7], s[76:77], v[8:9]
	s_delay_alu instid0(VALU_DEP_1) | instskip(NEXT) | instid1(VALU_DEP_1)
	v_add_f64_e32 v[14:15], v[36:37], v[8:9]
	v_add_f64_e64 v[10:11], v[14:15], -v[36:37]
	s_delay_alu instid0(VALU_DEP_1)
	v_add_f64_e64 v[36:37], v[8:9], -v[10:11]
	s_branch .LBB0_64
.LBB0_85:                               ;   in Loop: Header=BB0_34 Depth=1
	v_readlane_b32 s8, v105, 0
	v_readlane_b32 s11, v105, 3
	v_cmp_eq_u32_e32 vcc_lo, v40, v5
	v_readlane_b32 s6, v105, 4
	v_readlane_b32 s7, v105, 5
	s_mov_b32 vcc_hi, exec_lo
	s_wait_alu 0xf1ff
	v_mad_co_u64_u32 v[0:1], null, v4, s11, v[5:6]
	v_readlane_b32 s9, v105, 1
	v_readlane_b32 s10, v105, 2
	s_wait_alu 0xfffe
	s_delay_alu instid0(VALU_DEP_3) | instskip(NEXT) | instid1(VALU_DEP_1)
	v_subrev_co_ci_u32_e64 v0, null, 0, v0, vcc_lo
	v_ashrrev_i32_e32 v1, 31, v0
	s_delay_alu instid0(VALU_DEP_1) | instskip(NEXT) | instid1(VALU_DEP_1)
	v_lshlrev_b64_e32 v[0:1], 5, v[0:1]
	v_add_co_u32 v0, vcc_lo, s6, v0
	s_wait_alu 0xfffd
	s_delay_alu instid0(VALU_DEP_2)
	v_add_co_ci_u32_e64 v1, null, s7, v1, vcc_lo
	s_clause 0x1
	global_load_b128 v[5:8], v[0:1], off
	global_load_b128 v[0:3], v[0:1], off offset:16
	s_wait_loadcnt 0x1
	v_mul_f64_e32 v[36:37], v[18:19], v[5:6]
	v_mul_f64_e32 v[38:39], v[18:19], v[7:8]
	s_wait_loadcnt 0x0
	v_mul_f64_e32 v[0:1], v[18:19], v[0:1]
	v_cmpx_lt_i32_e64 v2, v3
	s_cbranch_execz .LBB0_32
; %bb.86:                               ;   in Loop: Header=BB0_34 Depth=1
	v_readlane_b32 s6, v105, 6
	s_mov_b32 s14, 0
	v_readlane_b32 s7, v105, 7
	s_wait_alu 0xf1ff
	v_mul_lo_u32 v85, v4, s6
	s_branch .LBB0_88
.LBB0_87:                               ;   in Loop: Header=BB0_88 Depth=2
	s_wait_alu 0xfffe
	s_or_b32 exec_lo, exec_lo, s15
	s_wait_loadcnt 0x2
	v_bfe_i32 v23, v86, 0, 16
	s_wait_loadcnt 0x1
	s_delay_alu instid0(VALU_DEP_2) | instskip(SKIP_1) | instid1(VALU_DEP_3)
	v_mul_f64_e32 v[10:11], v[10:11], v[46:47]
	v_add_nc_u32_e32 v2, 1, v2
	v_lshlrev_b32_e32 v23, 4, v23
	s_delay_alu instid0(VALU_DEP_2) | instskip(SKIP_3) | instid1(VALU_DEP_1)
	v_cmp_ge_i32_e32 vcc_lo, v2, v3
	scratch_load_b128 v[40:43], v23, off
	s_or_b32 s14, vcc_lo, s14
	v_fma_f64 v[8:9], v[8:9], v[44:45], -v[10:11]
	v_add_f64_e32 v[0:1], v[0:1], v[8:9]
	s_wait_loadcnt 0x0
	v_mul_f64_e32 v[48:49], v[44:45], v[42:43]
	v_mul_f64_e32 v[42:43], v[46:47], v[42:43]
	s_delay_alu instid0(VALU_DEP_2) | instskip(NEXT) | instid1(VALU_DEP_2)
	v_fma_f64 v[48:49], v[46:47], v[40:41], v[48:49]
	v_fma_f64 v[40:41], v[44:45], v[40:41], -v[42:43]
	s_delay_alu instid0(VALU_DEP_2) | instskip(NEXT) | instid1(VALU_DEP_1)
	v_mul_f64_e32 v[6:7], v[6:7], v[48:49]
	v_fma_f64 v[4:5], v[4:5], v[40:41], -v[6:7]
	v_mul_f64_e32 v[6:7], v[14:15], v[46:47]
	s_delay_alu instid0(VALU_DEP_2) | instskip(NEXT) | instid1(VALU_DEP_2)
	v_add_f64_e32 v[36:37], v[36:37], v[4:5]
	v_fma_f64 v[6:7], v[12:13], v[44:45], -v[6:7]
	s_delay_alu instid0(VALU_DEP_1)
	v_add_f64_e32 v[38:39], v[38:39], v[6:7]
	s_wait_alu 0xfffe
	s_and_not1_b32 exec_lo, exec_lo, s14
	s_cbranch_execz .LBB0_31
.LBB0_88:                               ;   Parent Loop BB0_34 Depth=1
                                        ; =>  This Loop Header: Depth=2
                                        ;       Child Loop BB0_100 Depth 3
	s_delay_alu instid0(VALU_DEP_1) | instskip(NEXT) | instid1(VALU_DEP_1)
	v_add_nc_u32_e32 v4, v2, v85
	v_mad_co_i64_i32 v[12:13], null, 0x48, v4, s[2:3]
	s_clause 0x1
	global_load_b128 v[8:11], v[12:13], off
	global_load_b128 v[4:7], v[12:13], off offset:16
	s_wait_loadcnt 0x1
	v_add_f64_e64 v[10:11], -v[10:11], 0
	v_add_f64_e64 v[8:9], v[18:19], -v[8:9]
	s_delay_alu instid0(VALU_DEP_2) | instskip(SKIP_1) | instid1(VALU_DEP_2)
	v_mul_f64_e32 v[14:15], 0.5, v[10:11]
	v_mul_f64_e32 v[10:11], 0, v[10:11]
	v_fma_f64 v[42:43], v[8:9], 0, v[14:15]
	s_delay_alu instid0(VALU_DEP_2) | instskip(NEXT) | instid1(VALU_DEP_2)
	v_fma_f64 v[40:41], v[8:9], 0.5, -v[10:11]
	v_mul_f64_e32 v[8:9], v[42:43], v[42:43]
	s_delay_alu instid0(VALU_DEP_1) | instskip(NEXT) | instid1(VALU_DEP_1)
	v_fma_f64 v[10:11], v[40:41], v[40:41], v[8:9]
	v_cmp_gt_f64_e32 vcc_lo, 0x10000000, v[10:11]
	s_wait_alu 0xfffd
	v_cndmask_b32_e64 v14, 0, 0x100, vcc_lo
	v_cndmask_b32_e64 v23, 0, 0xffffff80, vcc_lo
	s_delay_alu instid0(VALU_DEP_2) | instskip(NEXT) | instid1(VALU_DEP_1)
	v_ldexp_f64 v[10:11], v[10:11], v14
	v_rsq_f64_e32 v[14:15], v[10:11]
	v_cmp_class_f64_e64 vcc_lo, v[10:11], 0x260
	s_delay_alu instid0(TRANS32_DEP_1) | instskip(SKIP_1) | instid1(VALU_DEP_1)
	v_mul_f64_e32 v[44:45], v[10:11], v[14:15]
	v_mul_f64_e32 v[14:15], 0.5, v[14:15]
	v_fma_f64 v[46:47], -v[14:15], v[44:45], 0.5
	s_delay_alu instid0(VALU_DEP_1) | instskip(SKIP_1) | instid1(VALU_DEP_2)
	v_fma_f64 v[44:45], v[44:45], v[46:47], v[44:45]
	v_fma_f64 v[14:15], v[14:15], v[46:47], v[14:15]
	v_fma_f64 v[46:47], -v[44:45], v[44:45], v[10:11]
	s_delay_alu instid0(VALU_DEP_1) | instskip(NEXT) | instid1(VALU_DEP_1)
	v_fma_f64 v[44:45], v[46:47], v[14:15], v[44:45]
	v_fma_f64 v[46:47], -v[44:45], v[44:45], v[10:11]
	s_delay_alu instid0(VALU_DEP_1) | instskip(NEXT) | instid1(VALU_DEP_1)
	v_fma_f64 v[14:15], v[46:47], v[14:15], v[44:45]
                                        ; implicit-def: $vgpr46_vgpr47
                                        ; implicit-def: $vgpr44_vgpr45
	v_ldexp_f64 v[14:15], v[14:15], v23
	s_wait_alu 0xfffd
	s_delay_alu instid0(VALU_DEP_1) | instskip(SKIP_1) | instid1(VALU_DEP_2)
	v_dual_cndmask_b32 v11, v15, v11 :: v_dual_cndmask_b32 v10, v14, v10
	v_mul_f64_e32 v[14:15], v[40:41], v[40:41]
	v_cmp_ngt_f64_e32 vcc_lo, 0x40180000, v[10:11]
	s_delay_alu instid0(VALU_DEP_2) | instskip(SKIP_1) | instid1(VALU_DEP_1)
	v_add_f64_e64 v[50:51], v[14:15], -v[8:9]
	v_mul_f64_e32 v[8:9], v[40:41], v[42:43]
	v_add_f64_e32 v[48:49], v[8:9], v[8:9]
	s_clause 0x2
	global_load_u16 v86, v[12:13], off offset:64
	global_load_b128 v[8:11], v[12:13], off offset:48
	global_load_b128 v[12:15], v[12:13], off offset:32
	s_and_saveexec_b32 s0, vcc_lo
	s_wait_alu 0xfffe
	s_xor_b32 s0, exec_lo, s0
	s_cbranch_execz .LBB0_90
; %bb.89:                               ;   in Loop: Header=BB0_88 Depth=2
	v_add_f64_e32 v[44:45], s[20:21], v[50:51]
	v_mul_f64_e32 v[46:47], v[48:49], v[48:49]
	v_mul_f64_e32 v[52:53], 0, v[48:49]
	v_add_f64_e32 v[50:51], s[26:27], v[50:51]
	s_mov_b32 s6, 0x3629c600
	s_mov_b32 s7, 0x3faa80fd
	s_delay_alu instid0(VALU_DEP_3) | instskip(NEXT) | instid1(VALU_DEP_3)
	v_fma_f64 v[54:55], v[44:45], v[44:45], v[46:47]
	v_fma_f64 v[56:57], v[44:45], s[24:25], v[52:53]
	s_delay_alu instid0(VALU_DEP_3) | instskip(SKIP_2) | instid1(VALU_DEP_3)
	v_fma_f64 v[46:47], v[50:51], v[50:51], v[46:47]
	s_wait_alu 0xfffe
	v_fma_f64 v[52:53], v[50:51], s[6:7], v[52:53]
	v_div_scale_f64 v[58:59], null, v[54:55], v[54:55], v[56:57]
	s_delay_alu instid0(VALU_DEP_1) | instskip(NEXT) | instid1(TRANS32_DEP_1)
	v_rcp_f64_e32 v[60:61], v[58:59]
	v_fma_f64 v[62:63], -v[58:59], v[60:61], 1.0
	s_delay_alu instid0(VALU_DEP_1) | instskip(NEXT) | instid1(VALU_DEP_1)
	v_fma_f64 v[60:61], v[60:61], v[62:63], v[60:61]
	v_fma_f64 v[62:63], -v[58:59], v[60:61], 1.0
	s_delay_alu instid0(VALU_DEP_1) | instskip(SKIP_1) | instid1(VALU_DEP_1)
	v_fma_f64 v[60:61], v[60:61], v[62:63], v[60:61]
	v_div_scale_f64 v[62:63], vcc_lo, v[56:57], v[54:55], v[56:57]
	v_mul_f64_e32 v[64:65], v[62:63], v[60:61]
	s_delay_alu instid0(VALU_DEP_1) | instskip(SKIP_1) | instid1(VALU_DEP_1)
	v_fma_f64 v[58:59], -v[58:59], v[64:65], v[62:63]
	s_wait_alu 0xfffd
	v_div_fmas_f64 v[58:59], v[58:59], v[60:61], v[64:65]
	v_mul_f64_e32 v[60:61], s[24:25], v[48:49]
	v_mul_f64_e32 v[48:49], s[6:7], v[48:49]
	s_delay_alu instid0(VALU_DEP_2) | instskip(NEXT) | instid1(VALU_DEP_2)
	v_fma_f64 v[44:45], v[44:45], 0, -v[60:61]
	v_fma_f64 v[48:49], v[50:51], 0, -v[48:49]
	s_delay_alu instid0(VALU_DEP_2) | instskip(NEXT) | instid1(VALU_DEP_2)
	v_div_scale_f64 v[60:61], null, v[54:55], v[54:55], v[44:45]
	v_div_scale_f64 v[50:51], null, v[46:47], v[46:47], v[48:49]
	s_delay_alu instid0(VALU_DEP_2) | instskip(NEXT) | instid1(TRANS32_DEP_1)
	v_rcp_f64_e32 v[62:63], v[60:61]
	v_fma_f64 v[64:65], -v[60:61], v[62:63], 1.0
	s_delay_alu instid0(VALU_DEP_1) | instskip(NEXT) | instid1(VALU_DEP_1)
	v_fma_f64 v[62:63], v[62:63], v[64:65], v[62:63]
	v_fma_f64 v[64:65], -v[60:61], v[62:63], 1.0
	s_delay_alu instid0(VALU_DEP_1) | instskip(SKIP_1) | instid1(VALU_DEP_1)
	v_fma_f64 v[62:63], v[62:63], v[64:65], v[62:63]
	v_div_scale_f64 v[64:65], vcc_lo, v[44:45], v[54:55], v[44:45]
	v_mul_f64_e32 v[66:67], v[64:65], v[62:63]
	s_delay_alu instid0(VALU_DEP_1) | instskip(SKIP_1) | instid1(VALU_DEP_1)
	v_fma_f64 v[60:61], -v[60:61], v[66:67], v[64:65]
	s_wait_alu 0xfffd
	v_div_fmas_f64 v[60:61], v[60:61], v[62:63], v[66:67]
	v_div_scale_f64 v[62:63], null, v[46:47], v[46:47], v[52:53]
	s_delay_alu instid0(VALU_DEP_2) | instskip(NEXT) | instid1(VALU_DEP_2)
	v_div_fixup_f64 v[44:45], v[60:61], v[54:55], v[44:45]
	v_rcp_f64_e32 v[64:65], v[62:63]
	s_delay_alu instid0(TRANS32_DEP_1) | instskip(NEXT) | instid1(VALU_DEP_1)
	v_fma_f64 v[66:67], -v[62:63], v[64:65], 1.0
	v_fma_f64 v[64:65], v[64:65], v[66:67], v[64:65]
	s_delay_alu instid0(VALU_DEP_1) | instskip(NEXT) | instid1(VALU_DEP_1)
	v_fma_f64 v[66:67], -v[62:63], v[64:65], 1.0
	v_fma_f64 v[64:65], v[64:65], v[66:67], v[64:65]
	v_div_scale_f64 v[66:67], vcc_lo, v[52:53], v[46:47], v[52:53]
	s_delay_alu instid0(VALU_DEP_1) | instskip(NEXT) | instid1(VALU_DEP_1)
	v_mul_f64_e32 v[68:69], v[66:67], v[64:65]
	v_fma_f64 v[62:63], -v[62:63], v[68:69], v[66:67]
	s_wait_alu 0xfffd
	s_delay_alu instid0(VALU_DEP_1) | instskip(SKIP_1) | instid1(TRANS32_DEP_1)
	v_div_fmas_f64 v[62:63], v[62:63], v[64:65], v[68:69]
	v_rcp_f64_e32 v[64:65], v[50:51]
	v_fma_f64 v[66:67], -v[50:51], v[64:65], 1.0
	s_delay_alu instid0(VALU_DEP_1) | instskip(NEXT) | instid1(VALU_DEP_1)
	v_fma_f64 v[64:65], v[64:65], v[66:67], v[64:65]
	v_fma_f64 v[66:67], -v[50:51], v[64:65], 1.0
	s_delay_alu instid0(VALU_DEP_1) | instskip(SKIP_1) | instid1(VALU_DEP_1)
	v_fma_f64 v[64:65], v[64:65], v[66:67], v[64:65]
	v_div_scale_f64 v[66:67], vcc_lo, v[48:49], v[46:47], v[48:49]
	v_mul_f64_e32 v[68:69], v[66:67], v[64:65]
	s_delay_alu instid0(VALU_DEP_1) | instskip(SKIP_1) | instid1(VALU_DEP_1)
	v_fma_f64 v[50:51], -v[50:51], v[68:69], v[66:67]
	s_wait_alu 0xfffd
	v_div_fmas_f64 v[50:51], v[50:51], v[64:65], v[68:69]
	s_delay_alu instid0(VALU_DEP_1)
	v_div_fixup_f64 v[48:49], v[50:51], v[46:47], v[48:49]
	v_div_fixup_f64 v[50:51], v[58:59], v[54:55], v[56:57]
	v_fma_f64 v[54:55], v[42:43], 0, v[40:41]
	v_div_fixup_f64 v[46:47], v[62:63], v[46:47], v[52:53]
	v_fma_f64 v[40:41], v[40:41], 0, -v[42:43]
	v_add_f64_e32 v[44:45], v[44:45], v[48:49]
	s_delay_alu instid0(VALU_DEP_3) | instskip(NEXT) | instid1(VALU_DEP_2)
	v_add_f64_e32 v[42:43], v[50:51], v[46:47]
                                        ; implicit-def: $vgpr50_vgpr51
	v_mul_f64_e32 v[46:47], v[54:55], v[44:45]
	s_delay_alu instid0(VALU_DEP_4) | instskip(NEXT) | instid1(VALU_DEP_2)
	v_mul_f64_e32 v[48:49], v[40:41], v[44:45]
	v_fma_f64 v[44:45], v[40:41], v[42:43], -v[46:47]
	s_delay_alu instid0(VALU_DEP_2)
	v_fma_f64 v[46:47], v[54:55], v[42:43], v[48:49]
                                        ; implicit-def: $vgpr42_vgpr43
                                        ; implicit-def: $vgpr40_vgpr41
                                        ; implicit-def: $vgpr48_vgpr49
.LBB0_90:                               ;   in Loop: Header=BB0_88 Depth=2
	s_wait_alu 0xfffe
	s_and_not1_saveexec_b32 s15, s0
	s_cbranch_execz .LBB0_87
; %bb.91:                               ;   in Loop: Header=BB0_88 Depth=2
	v_mul_f64_e32 v[44:45], 0, v[42:43]
                                        ; implicit-def: $vgpr87
                                        ; implicit-def: $vgpr52_vgpr53
                                        ; implicit-def: $vgpr54_vgpr55
	s_delay_alu instid0(VALU_DEP_1) | instskip(NEXT) | instid1(VALU_DEP_1)
	v_fma_f64 v[46:47], 0x40280000, v[40:41], v[44:45]
	v_cmp_gt_f64_e64 vcc_lo, 0x41d00000, |v[46:47]|
	v_cmp_ngt_f64_e64 s12, 0x41d00000, |v[46:47]|
	v_trig_preop_f64 v[62:63], |v[46:47]|, 0
	v_trig_preop_f64 v[60:61], |v[46:47]|, 1
	v_ldexp_f64 v[64:65], |v[46:47]|, 0xffffff80
	v_trig_preop_f64 v[66:67], |v[46:47]|, 2
	v_and_b32_e32 v72, 0x7fffffff, v47
	s_and_saveexec_b32 s0, s12
	s_wait_alu 0xfffe
	s_xor_b32 s22, exec_lo, s0
	s_cbranch_execz .LBB0_93
; %bb.92:                               ;   in Loop: Header=BB0_88 Depth=2
	v_ldexp_f64 v[52:53], |v[46:47]|, 0xffffff80
	v_cmp_le_f64_e64 s0, 0x7b000000, |v[46:47]|
	v_trig_preop_f64 v[54:55], |v[46:47]|, 0
	v_trig_preop_f64 v[56:57], |v[46:47]|, 1
	;; [unrolled: 1-line block ×3, first 2 shown]
	s_wait_alu 0xf1ff
	s_delay_alu instid0(VALU_DEP_4) | instskip(SKIP_1) | instid1(VALU_DEP_1)
	v_cndmask_b32_e64 v53, v72, v53, s0
	v_cndmask_b32_e64 v52, v46, v52, s0
	v_mul_f64_e32 v[68:69], v[54:55], v[52:53]
	v_mul_f64_e32 v[70:71], v[56:57], v[52:53]
	;; [unrolled: 1-line block ×3, first 2 shown]
	s_delay_alu instid0(VALU_DEP_3) | instskip(NEXT) | instid1(VALU_DEP_3)
	v_fma_f64 v[54:55], v[54:55], v[52:53], -v[68:69]
	v_fma_f64 v[56:57], v[56:57], v[52:53], -v[70:71]
	s_delay_alu instid0(VALU_DEP_3) | instskip(NEXT) | instid1(VALU_DEP_3)
	v_fma_f64 v[52:53], v[58:59], v[52:53], -v[73:74]
	v_add_f64_e32 v[58:59], v[70:71], v[54:55]
	s_delay_alu instid0(VALU_DEP_1) | instskip(NEXT) | instid1(VALU_DEP_1)
	v_add_f64_e64 v[75:76], v[58:59], -v[70:71]
	v_add_f64_e64 v[54:55], v[54:55], -v[75:76]
	;; [unrolled: 1-line block ×3, first 2 shown]
	s_delay_alu instid0(VALU_DEP_1) | instskip(SKIP_1) | instid1(VALU_DEP_2)
	v_add_f64_e64 v[70:71], v[70:71], -v[75:76]
	v_add_f64_e32 v[75:76], v[73:74], v[56:57]
	v_add_f64_e32 v[54:55], v[54:55], v[70:71]
	s_delay_alu instid0(VALU_DEP_2) | instskip(SKIP_1) | instid1(VALU_DEP_2)
	v_add_f64_e64 v[77:78], v[75:76], -v[73:74]
	v_add_f64_e32 v[70:71], v[68:69], v[58:59]
	v_add_f64_e64 v[56:57], v[56:57], -v[77:78]
	v_add_f64_e64 v[77:78], v[75:76], -v[77:78]
	s_delay_alu instid0(VALU_DEP_3) | instskip(SKIP_1) | instid1(VALU_DEP_3)
	v_add_f64_e64 v[68:69], v[70:71], -v[68:69]
	v_ldexp_f64 v[70:71], v[70:71], -2
	v_add_f64_e64 v[73:74], v[73:74], -v[77:78]
	s_delay_alu instid0(VALU_DEP_3) | instskip(NEXT) | instid1(VALU_DEP_3)
	v_add_f64_e64 v[58:59], v[58:59], -v[68:69]
	v_fract_f64_e32 v[77:78], v[70:71]
	v_cmp_neq_f64_e64 s0, 0x7ff00000, |v[70:71]|
	v_add_f64_e32 v[70:71], v[75:76], v[54:55]
	v_add_f64_e32 v[56:57], v[56:57], v[73:74]
	s_delay_alu instid0(VALU_DEP_4) | instskip(NEXT) | instid1(VALU_DEP_3)
	v_ldexp_f64 v[77:78], v[77:78], 2
	v_add_f64_e64 v[79:80], v[70:71], -v[75:76]
	v_add_f64_e32 v[73:74], v[58:59], v[70:71]
	s_wait_alu 0xf1ff
	s_delay_alu instid0(VALU_DEP_3) | instskip(NEXT) | instid1(VALU_DEP_4)
	v_cndmask_b32_e64 v69, 0, v78, s0
	v_cndmask_b32_e64 v68, 0, v77, s0
	s_delay_alu instid0(VALU_DEP_4) | instskip(SKIP_2) | instid1(VALU_DEP_2)
	v_add_f64_e64 v[54:55], v[54:55], -v[79:80]
	v_add_f64_e64 v[79:80], v[70:71], -v[79:80]
	;; [unrolled: 1-line block ×4, first 2 shown]
	s_delay_alu instid0(VALU_DEP_2) | instskip(NEXT) | instid1(VALU_DEP_2)
	v_add_f64_e64 v[58:59], v[70:71], -v[58:59]
	v_add_f64_e32 v[54:55], v[54:55], v[75:76]
	v_add_f64_e32 v[75:76], v[73:74], v[68:69]
	s_delay_alu instid0(VALU_DEP_2) | instskip(NEXT) | instid1(VALU_DEP_2)
	v_add_f64_e32 v[54:55], v[56:57], v[54:55]
	v_cmp_gt_f64_e64 s0, 0, v[75:76]
	s_delay_alu instid0(VALU_DEP_2) | instskip(SKIP_1) | instid1(VALU_DEP_2)
	v_add_f64_e32 v[52:53], v[52:53], v[54:55]
	s_wait_alu 0xf1ff
	v_cndmask_b32_e64 v23, 0, 0x40100000, s0
	s_delay_alu instid0(VALU_DEP_1) | instskip(NEXT) | instid1(VALU_DEP_3)
	v_add_f64_e32 v[68:69], v[68:69], v[22:23]
	v_add_f64_e32 v[52:53], v[58:59], v[52:53]
	s_delay_alu instid0(VALU_DEP_2) | instskip(NEXT) | instid1(VALU_DEP_1)
	v_add_f64_e32 v[75:76], v[73:74], v[68:69]
	v_cvt_i32_f64_e32 v77, v[75:76]
	s_delay_alu instid0(VALU_DEP_1) | instskip(NEXT) | instid1(VALU_DEP_1)
	v_cvt_f64_i32_e32 v[75:76], v77
	v_add_f64_e64 v[68:69], v[68:69], -v[75:76]
	s_delay_alu instid0(VALU_DEP_1) | instskip(NEXT) | instid1(VALU_DEP_1)
	v_add_f64_e32 v[56:57], v[73:74], v[68:69]
	v_add_f64_e64 v[54:55], v[56:57], -v[68:69]
	v_cmp_le_f64_e64 s0, 0.5, v[56:57]
	s_delay_alu instid0(VALU_DEP_2) | instskip(SKIP_1) | instid1(VALU_DEP_2)
	v_add_f64_e64 v[54:55], v[73:74], -v[54:55]
	s_wait_alu 0xf1ff
	v_cndmask_b32_e64 v23, 0, 0x3ff00000, s0
	v_add_co_ci_u32_e64 v87, null, 0, v77, s0
	s_delay_alu instid0(VALU_DEP_2) | instskip(NEXT) | instid1(VALU_DEP_4)
	v_add_f64_e64 v[56:57], v[56:57], -v[22:23]
	v_add_f64_e32 v[52:53], v[52:53], v[54:55]
	s_delay_alu instid0(VALU_DEP_1) | instskip(NEXT) | instid1(VALU_DEP_1)
	v_add_f64_e32 v[54:55], v[56:57], v[52:53]
	v_mul_f64_e32 v[58:59], s[68:69], v[54:55]
	v_add_f64_e64 v[56:57], v[54:55], -v[56:57]
	s_delay_alu instid0(VALU_DEP_2) | instskip(NEXT) | instid1(VALU_DEP_2)
	v_fma_f64 v[68:69], v[54:55], s[68:69], -v[58:59]
	v_add_f64_e64 v[52:53], v[52:53], -v[56:57]
	s_delay_alu instid0(VALU_DEP_2) | instskip(NEXT) | instid1(VALU_DEP_1)
	v_fma_f64 v[54:55], v[54:55], s[16:17], v[68:69]
	v_fma_f64 v[54:55], v[52:53], s[68:69], v[54:55]
	s_delay_alu instid0(VALU_DEP_1) | instskip(NEXT) | instid1(VALU_DEP_1)
	v_add_f64_e32 v[52:53], v[58:59], v[54:55]
	v_add_f64_e64 v[56:57], v[52:53], -v[58:59]
	s_delay_alu instid0(VALU_DEP_1)
	v_add_f64_e64 v[54:55], v[54:55], -v[56:57]
	s_wait_alu 0xfffe
	s_and_not1_saveexec_b32 s22, s22
	s_cbranch_execz .LBB0_95
	s_branch .LBB0_94
.LBB0_93:                               ;   in Loop: Header=BB0_88 Depth=2
	s_wait_alu 0xfffe
	s_and_not1_saveexec_b32 s22, s22
	s_cbranch_execz .LBB0_95
.LBB0_94:                               ;   in Loop: Header=BB0_88 Depth=2
	v_mul_f64_e64 v[52:53], |v[46:47]|, s[72:73]
	s_mov_b32 s0, s68
	s_mov_b32 s70, s74
	;; [unrolled: 1-line block ×3, first 2 shown]
	s_delay_alu instid0(VALU_DEP_1) | instskip(SKIP_1) | instid1(VALU_DEP_1)
	v_rndne_f64_e32 v[56:57], v[52:53]
	s_wait_alu 0xfffe
	v_fma_f64 v[52:53], v[56:57], s[0:1], |v[46:47]|
	v_mul_f64_e32 v[54:55], s[74:75], v[56:57]
	v_cvt_i32_f64_e32 v87, v[56:57]
	s_delay_alu instid0(VALU_DEP_3) | instskip(NEXT) | instid1(VALU_DEP_3)
	v_fma_f64 v[68:69], v[56:57], s[74:75], v[52:53]
	v_add_f64_e32 v[58:59], v[52:53], v[54:55]
	s_delay_alu instid0(VALU_DEP_1) | instskip(NEXT) | instid1(VALU_DEP_3)
	v_add_f64_e64 v[52:53], v[52:53], -v[58:59]
	v_add_f64_e64 v[58:59], v[58:59], -v[68:69]
	s_delay_alu instid0(VALU_DEP_2) | instskip(SKIP_1) | instid1(VALU_DEP_2)
	v_add_f64_e32 v[52:53], v[52:53], v[54:55]
	v_fma_f64 v[54:55], v[56:57], s[70:71], v[54:55]
	v_add_f64_e32 v[52:53], v[58:59], v[52:53]
	s_delay_alu instid0(VALU_DEP_1) | instskip(NEXT) | instid1(VALU_DEP_1)
	v_add_f64_e64 v[52:53], v[52:53], -v[54:55]
	v_fma_f64 v[54:55], v[56:57], s[76:77], v[52:53]
	s_delay_alu instid0(VALU_DEP_1) | instskip(NEXT) | instid1(VALU_DEP_1)
	v_add_f64_e32 v[52:53], v[68:69], v[54:55]
	v_add_f64_e64 v[58:59], v[52:53], -v[68:69]
	s_delay_alu instid0(VALU_DEP_1)
	v_add_f64_e64 v[54:55], v[54:55], -v[58:59]
.LBB0_95:                               ;   in Loop: Header=BB0_88 Depth=2
	s_wait_alu 0xfffe
	s_or_b32 exec_lo, exec_lo, s22
                                        ; implicit-def: $vgpr88
                                        ; implicit-def: $vgpr56_vgpr57
                                        ; implicit-def: $vgpr58_vgpr59
                                        ; implicit-def: $vgpr70_vgpr71
                                        ; implicit-def: $vgpr68_vgpr69
                                        ; implicit-def: $vgpr73
	s_and_saveexec_b32 s0, s12
	s_wait_alu 0xfffe
	s_xor_b32 s12, exec_lo, s0
	s_cbranch_execz .LBB0_97
; %bb.96:                               ;   in Loop: Header=BB0_88 Depth=2
	v_ldexp_f64 v[64:65], |v[46:47]|, 0xffffff80
	v_cmp_le_f64_e64 s0, 0x7b000000, |v[46:47]|
	v_trig_preop_f64 v[62:63], |v[46:47]|, 0
	v_trig_preop_f64 v[60:61], |v[46:47]|, 1
	s_mov_b32 s18, s74
	s_mov_b32 s19, s17
	v_cndmask_b32_e64 v57, v72, v65, s0
	v_cndmask_b32_e64 v56, v46, v64, s0
	s_delay_alu instid0(VALU_DEP_1) | instskip(NEXT) | instid1(VALU_DEP_4)
	v_mul_f64_e32 v[58:59], v[62:63], v[56:57]
	v_mul_f64_e32 v[66:67], v[60:61], v[56:57]
	s_delay_alu instid0(VALU_DEP_2) | instskip(NEXT) | instid1(VALU_DEP_1)
	v_fma_f64 v[68:69], v[62:63], v[56:57], -v[58:59]
	v_add_f64_e32 v[70:71], v[66:67], v[68:69]
	s_delay_alu instid0(VALU_DEP_1) | instskip(NEXT) | instid1(VALU_DEP_1)
	v_add_f64_e64 v[73:74], v[70:71], -v[66:67]
	v_add_f64_e64 v[68:69], v[68:69], -v[73:74]
	;; [unrolled: 1-line block ×3, first 2 shown]
	s_delay_alu instid0(VALU_DEP_1) | instskip(NEXT) | instid1(VALU_DEP_1)
	v_add_f64_e64 v[73:74], v[66:67], -v[73:74]
	v_add_f64_e32 v[68:69], v[68:69], v[73:74]
	v_fma_f64 v[73:74], v[60:61], v[56:57], -v[66:67]
	v_trig_preop_f64 v[66:67], |v[46:47]|, 2
	s_delay_alu instid0(VALU_DEP_1) | instskip(NEXT) | instid1(VALU_DEP_1)
	v_mul_f64_e32 v[75:76], v[66:67], v[56:57]
	v_add_f64_e32 v[77:78], v[75:76], v[73:74]
	v_fma_f64 v[56:57], v[66:67], v[56:57], -v[75:76]
	s_delay_alu instid0(VALU_DEP_2) | instskip(NEXT) | instid1(VALU_DEP_1)
	v_add_f64_e64 v[79:80], v[77:78], -v[75:76]
	v_add_f64_e64 v[73:74], v[73:74], -v[79:80]
	;; [unrolled: 1-line block ×3, first 2 shown]
	s_delay_alu instid0(VALU_DEP_1) | instskip(NEXT) | instid1(VALU_DEP_1)
	v_add_f64_e64 v[79:80], v[75:76], -v[79:80]
	v_add_f64_e32 v[73:74], v[73:74], v[79:80]
	v_add_f64_e32 v[79:80], v[77:78], v[68:69]
	s_delay_alu instid0(VALU_DEP_1) | instskip(NEXT) | instid1(VALU_DEP_1)
	v_add_f64_e64 v[88:89], v[79:80], -v[77:78]
	v_add_f64_e64 v[68:69], v[68:69], -v[88:89]
	;; [unrolled: 1-line block ×3, first 2 shown]
	s_delay_alu instid0(VALU_DEP_1) | instskip(SKIP_1) | instid1(VALU_DEP_2)
	v_add_f64_e64 v[77:78], v[77:78], -v[88:89]
	v_add_f64_e32 v[88:89], v[58:59], v[70:71]
	v_add_f64_e32 v[68:69], v[68:69], v[77:78]
	s_delay_alu instid0(VALU_DEP_2) | instskip(SKIP_1) | instid1(VALU_DEP_3)
	v_add_f64_e64 v[58:59], v[88:89], -v[58:59]
	v_ldexp_f64 v[88:89], v[88:89], -2
	v_add_f64_e32 v[68:69], v[73:74], v[68:69]
	s_delay_alu instid0(VALU_DEP_3) | instskip(NEXT) | instid1(VALU_DEP_3)
	v_add_f64_e64 v[58:59], v[70:71], -v[58:59]
	v_fract_f64_e32 v[90:91], v[88:89]
	v_cmp_neq_f64_e64 s0, 0x7ff00000, |v[88:89]|
	s_delay_alu instid0(VALU_DEP_4) | instskip(NEXT) | instid1(VALU_DEP_4)
	v_add_f64_e32 v[56:57], v[56:57], v[68:69]
	v_add_f64_e32 v[73:74], v[58:59], v[79:80]
	s_delay_alu instid0(VALU_DEP_4) | instskip(NEXT) | instid1(VALU_DEP_2)
	v_ldexp_f64 v[90:91], v[90:91], 2
	v_add_f64_e64 v[58:59], v[73:74], -v[58:59]
	s_wait_alu 0xf1ff
	s_delay_alu instid0(VALU_DEP_2) | instskip(NEXT) | instid1(VALU_DEP_3)
	v_cndmask_b32_e64 v71, 0, v91, s0
	v_cndmask_b32_e64 v70, 0, v90, s0
	s_delay_alu instid0(VALU_DEP_1) | instskip(NEXT) | instid1(VALU_DEP_4)
	v_add_f64_e32 v[68:69], v[73:74], v[70:71]
	v_add_f64_e64 v[58:59], v[79:80], -v[58:59]
	s_delay_alu instid0(VALU_DEP_2) | instskip(NEXT) | instid1(VALU_DEP_2)
	v_cmp_gt_f64_e64 s0, 0, v[68:69]
	v_add_f64_e32 v[56:57], v[58:59], v[56:57]
	s_wait_alu 0xf1ff
	s_delay_alu instid0(VALU_DEP_2) | instskip(SKIP_1) | instid1(VALU_DEP_1)
	v_cndmask_b32_e64 v23, 0, 0x40100000, s0
	s_mov_b32 s0, s68
	v_add_f64_e32 v[68:69], v[70:71], v[22:23]
	s_delay_alu instid0(VALU_DEP_1) | instskip(NEXT) | instid1(VALU_DEP_1)
	v_add_f64_e32 v[70:71], v[73:74], v[68:69]
	v_cvt_i32_f64_e32 v81, v[70:71]
	s_delay_alu instid0(VALU_DEP_1) | instskip(NEXT) | instid1(VALU_DEP_1)
	v_cvt_f64_i32_e32 v[70:71], v81
	v_add_f64_e64 v[68:69], v[68:69], -v[70:71]
	v_mul_f64_e64 v[70:71], |v[46:47]|, s[72:73]
	s_delay_alu instid0(VALU_DEP_2) | instskip(NEXT) | instid1(VALU_DEP_1)
	v_add_f64_e32 v[58:59], v[73:74], v[68:69]
	v_add_f64_e64 v[68:69], v[58:59], -v[68:69]
	s_delay_alu instid0(VALU_DEP_1) | instskip(NEXT) | instid1(VALU_DEP_4)
	v_add_f64_e64 v[68:69], v[73:74], -v[68:69]
	v_rndne_f64_e32 v[73:74], v[70:71]
	s_delay_alu instid0(VALU_DEP_2) | instskip(SKIP_1) | instid1(VALU_DEP_2)
	v_add_f64_e32 v[56:57], v[56:57], v[68:69]
	s_wait_alu 0xfffe
	v_fma_f64 v[70:71], v[73:74], s[0:1], |v[46:47]|
	v_cmp_le_f64_e64 s0, 0.5, v[58:59]
	v_mul_f64_e32 v[75:76], s[74:75], v[73:74]
	s_delay_alu instid0(VALU_DEP_3) | instskip(SKIP_1) | instid1(VALU_DEP_3)
	v_fma_f64 v[79:80], v[73:74], s[74:75], v[70:71]
	s_wait_alu 0xf1ff
	v_cndmask_b32_e64 v23, 0, 0x3ff00000, s0
	s_delay_alu instid0(VALU_DEP_3) | instskip(SKIP_1) | instid1(VALU_DEP_3)
	v_add_f64_e32 v[77:78], v[70:71], v[75:76]
	v_add_co_ci_u32_e64 v88, null, 0, v81, s0
	v_add_f64_e64 v[58:59], v[58:59], -v[22:23]
	s_delay_alu instid0(VALU_DEP_3) | instskip(SKIP_1) | instid1(VALU_DEP_3)
	v_add_f64_e64 v[70:71], v[70:71], -v[77:78]
	v_add_f64_e64 v[77:78], v[77:78], -v[79:80]
	v_add_f64_e32 v[68:69], v[58:59], v[56:57]
	s_delay_alu instid0(VALU_DEP_3) | instskip(SKIP_1) | instid1(VALU_DEP_3)
	v_add_f64_e32 v[70:71], v[70:71], v[75:76]
	v_fma_f64 v[75:76], v[73:74], s[18:19], v[75:76]
	v_add_f64_e64 v[58:59], v[68:69], -v[58:59]
	s_delay_alu instid0(VALU_DEP_3) | instskip(NEXT) | instid1(VALU_DEP_2)
	v_add_f64_e32 v[70:71], v[77:78], v[70:71]
	v_add_f64_e64 v[56:57], v[56:57], -v[58:59]
	v_mul_f64_e32 v[58:59], s[68:69], v[68:69]
	s_delay_alu instid0(VALU_DEP_3) | instskip(NEXT) | instid1(VALU_DEP_2)
	v_add_f64_e64 v[70:71], v[70:71], -v[75:76]
	v_fma_f64 v[77:78], v[68:69], s[68:69], -v[58:59]
	s_delay_alu instid0(VALU_DEP_1) | instskip(NEXT) | instid1(VALU_DEP_1)
	v_fma_f64 v[68:69], v[68:69], s[16:17], v[77:78]
	v_fma_f64 v[75:76], v[56:57], s[68:69], v[68:69]
	s_delay_alu instid0(VALU_DEP_4) | instskip(SKIP_1) | instid1(VALU_DEP_2)
	v_fma_f64 v[56:57], v[73:74], s[76:77], v[70:71]
	v_cvt_i32_f64_e32 v73, v[73:74]
	v_add_f64_e32 v[70:71], v[79:80], v[56:57]
	s_delay_alu instid0(VALU_DEP_1) | instskip(NEXT) | instid1(VALU_DEP_1)
	v_add_f64_e64 v[68:69], v[70:71], -v[79:80]
	v_add_f64_e64 v[68:69], v[56:57], -v[68:69]
	v_add_f64_e32 v[56:57], v[58:59], v[75:76]
	s_delay_alu instid0(VALU_DEP_1) | instskip(NEXT) | instid1(VALU_DEP_1)
	v_add_f64_e64 v[58:59], v[56:57], -v[58:59]
	v_add_f64_e64 v[58:59], v[75:76], -v[58:59]
	s_and_not1_saveexec_b32 s12, s12
	s_cbranch_execnz .LBB0_98
	s_branch .LBB0_99
.LBB0_97:                               ;   in Loop: Header=BB0_88 Depth=2
	s_wait_alu 0xfffe
	s_and_not1_saveexec_b32 s12, s12
	s_cbranch_execz .LBB0_99
.LBB0_98:                               ;   in Loop: Header=BB0_88 Depth=2
	v_mul_f64_e64 v[56:57], |v[46:47]|, s[72:73]
	s_mov_b32 s0, s68
	s_mov_b32 s18, s74
	;; [unrolled: 1-line block ×3, first 2 shown]
	s_delay_alu instid0(VALU_DEP_1) | instskip(SKIP_1) | instid1(VALU_DEP_1)
	v_rndne_f64_e32 v[56:57], v[56:57]
	s_wait_alu 0xfffe
	v_fma_f64 v[58:59], v[56:57], s[0:1], |v[46:47]|
	v_mul_f64_e32 v[68:69], s[74:75], v[56:57]
	s_delay_alu instid0(VALU_DEP_2) | instskip(NEXT) | instid1(VALU_DEP_2)
	v_fma_f64 v[73:74], v[56:57], s[74:75], v[58:59]
	v_add_f64_e32 v[70:71], v[58:59], v[68:69]
	s_delay_alu instid0(VALU_DEP_1) | instskip(NEXT) | instid1(VALU_DEP_3)
	v_add_f64_e64 v[58:59], v[58:59], -v[70:71]
	v_add_f64_e64 v[70:71], v[70:71], -v[73:74]
	s_delay_alu instid0(VALU_DEP_2) | instskip(SKIP_1) | instid1(VALU_DEP_2)
	v_add_f64_e32 v[58:59], v[58:59], v[68:69]
	v_fma_f64 v[68:69], v[56:57], s[18:19], v[68:69]
	v_add_f64_e32 v[58:59], v[70:71], v[58:59]
	s_delay_alu instid0(VALU_DEP_1) | instskip(NEXT) | instid1(VALU_DEP_1)
	v_add_f64_e64 v[58:59], v[58:59], -v[68:69]
	v_fma_f64 v[58:59], v[56:57], s[76:77], v[58:59]
	s_delay_alu instid0(VALU_DEP_1) | instskip(NEXT) | instid1(VALU_DEP_1)
	v_add_f64_e32 v[70:71], v[73:74], v[58:59]
	v_add_f64_e64 v[68:69], v[70:71], -v[73:74]
	v_cvt_i32_f64_e32 v73, v[56:57]
	v_dual_mov_b32 v56, v70 :: v_dual_mov_b32 v57, v71
	s_delay_alu instid0(VALU_DEP_3) | instskip(NEXT) | instid1(VALU_DEP_3)
	v_add_f64_e64 v[68:69], v[58:59], -v[68:69]
	v_mov_b32_e32 v88, v73
	s_delay_alu instid0(VALU_DEP_2)
	v_dual_mov_b32 v58, v68 :: v_dual_mov_b32 v59, v69
.LBB0_99:                               ;   in Loop: Header=BB0_88 Depth=2
	s_wait_alu 0xfffe
	s_or_b32 exec_lo, exec_lo, s12
	v_cmp_le_f64_e64 s0, 0x7b000000, |v[46:47]|
	s_mov_b32 s12, s88
	s_mov_b64 s[22:23], 0
	v_cndmask_b32_e64 v65, v72, v65, s0
	v_cndmask_b32_e64 v64, v46, v64, s0
	s_delay_alu instid0(VALU_DEP_1) | instskip(SKIP_2) | instid1(VALU_DEP_3)
	v_mul_f64_e32 v[74:75], v[64:65], v[62:63]
	v_mul_f64_e32 v[76:77], v[60:61], v[64:65]
	;; [unrolled: 1-line block ×3, first 2 shown]
	v_fma_f64 v[62:63], v[62:63], v[64:65], -v[74:75]
	s_delay_alu instid0(VALU_DEP_3) | instskip(NEXT) | instid1(VALU_DEP_3)
	v_fma_f64 v[60:61], v[60:61], v[64:65], -v[76:77]
	v_fma_f64 v[64:65], v[66:67], v[64:65], -v[78:79]
	s_delay_alu instid0(VALU_DEP_3) | instskip(NEXT) | instid1(VALU_DEP_1)
	v_add_f64_e32 v[66:67], v[76:77], v[62:63]
	v_add_f64_e64 v[80:81], v[66:67], -v[76:77]
	s_delay_alu instid0(VALU_DEP_1) | instskip(SKIP_1) | instid1(VALU_DEP_1)
	v_add_f64_e64 v[62:63], v[62:63], -v[80:81]
	v_add_f64_e64 v[80:81], v[66:67], -v[80:81]
	;; [unrolled: 1-line block ×3, first 2 shown]
	v_add_f64_e32 v[80:81], v[78:79], v[60:61]
	s_delay_alu instid0(VALU_DEP_2) | instskip(NEXT) | instid1(VALU_DEP_2)
	v_add_f64_e32 v[62:63], v[62:63], v[76:77]
	v_add_f64_e64 v[89:90], v[80:81], -v[78:79]
	s_delay_alu instid0(VALU_DEP_2) | instskip(NEXT) | instid1(VALU_DEP_2)
	v_add_f64_e32 v[76:77], v[80:81], v[62:63]
	v_add_f64_e64 v[60:61], v[60:61], -v[89:90]
	v_add_f64_e64 v[89:90], v[80:81], -v[89:90]
	s_delay_alu instid0(VALU_DEP_1) | instskip(NEXT) | instid1(VALU_DEP_1)
	v_add_f64_e64 v[78:79], v[78:79], -v[89:90]
	v_add_f64_e32 v[60:61], v[60:61], v[78:79]
	v_add_f64_e64 v[78:79], v[76:77], -v[80:81]
	s_delay_alu instid0(VALU_DEP_1) | instskip(SKIP_1) | instid1(VALU_DEP_1)
	v_add_f64_e64 v[62:63], v[62:63], -v[78:79]
	v_add_f64_e64 v[78:79], v[76:77], -v[78:79]
	;; [unrolled: 1-line block ×3, first 2 shown]
	v_add_f64_e32 v[80:81], v[74:75], v[66:67]
	s_delay_alu instid0(VALU_DEP_2) | instskip(NEXT) | instid1(VALU_DEP_2)
	v_add_f64_e32 v[62:63], v[62:63], v[78:79]
	v_add_f64_e64 v[74:75], v[80:81], -v[74:75]
	v_ldexp_f64 v[80:81], v[80:81], -2
	s_delay_alu instid0(VALU_DEP_3) | instskip(NEXT) | instid1(VALU_DEP_3)
	v_add_f64_e32 v[60:61], v[60:61], v[62:63]
	v_add_f64_e64 v[66:67], v[66:67], -v[74:75]
	s_delay_alu instid0(VALU_DEP_3) | instskip(SKIP_1) | instid1(VALU_DEP_4)
	v_fract_f64_e32 v[89:90], v[80:81]
	v_cmp_neq_f64_e64 s0, 0x7ff00000, |v[80:81]|
	v_add_f64_e32 v[60:61], v[64:65], v[60:61]
	s_delay_alu instid0(VALU_DEP_4) | instskip(NEXT) | instid1(VALU_DEP_4)
	v_add_f64_e32 v[62:63], v[66:67], v[76:77]
	v_ldexp_f64 v[89:90], v[89:90], 2
	s_delay_alu instid0(VALU_DEP_2) | instskip(SKIP_1) | instid1(VALU_DEP_2)
	v_add_f64_e64 v[66:67], v[62:63], -v[66:67]
	s_wait_alu 0xf1ff
	v_cndmask_b32_e64 v75, 0, v90, s0
	s_delay_alu instid0(VALU_DEP_3) | instskip(NEXT) | instid1(VALU_DEP_1)
	v_cndmask_b32_e64 v74, 0, v89, s0
	v_add_f64_e32 v[64:65], v[62:63], v[74:75]
	s_delay_alu instid0(VALU_DEP_4) | instskip(NEXT) | instid1(VALU_DEP_2)
	v_add_f64_e64 v[66:67], v[76:77], -v[66:67]
	v_cmp_gt_f64_e64 s0, 0, v[64:65]
	s_delay_alu instid0(VALU_DEP_2) | instskip(SKIP_1) | instid1(VALU_DEP_2)
	v_add_f64_e32 v[60:61], v[66:67], v[60:61]
	s_wait_alu 0xf1ff
	v_cndmask_b32_e64 v23, 0, 0x40100000, s0
	s_delay_alu instid0(VALU_DEP_1) | instskip(NEXT) | instid1(VALU_DEP_1)
	v_add_f64_e32 v[64:65], v[74:75], v[22:23]
	v_add_f64_e32 v[74:75], v[62:63], v[64:65]
	s_delay_alu instid0(VALU_DEP_1) | instskip(NEXT) | instid1(VALU_DEP_1)
	v_cvt_i32_f64_e32 v72, v[74:75]
	v_cvt_f64_i32_e32 v[74:75], v72
	s_delay_alu instid0(VALU_DEP_1) | instskip(NEXT) | instid1(VALU_DEP_1)
	v_add_f64_e64 v[64:65], v[64:65], -v[74:75]
	v_add_f64_e32 v[66:67], v[62:63], v[64:65]
	s_delay_alu instid0(VALU_DEP_1) | instskip(SKIP_1) | instid1(VALU_DEP_2)
	v_add_f64_e64 v[64:65], v[66:67], -v[64:65]
	v_cmp_le_f64_e64 s0, 0.5, v[66:67]
	v_add_f64_e64 v[62:63], v[62:63], -v[64:65]
	s_wait_alu 0xf1ff
	s_delay_alu instid0(VALU_DEP_2) | instskip(NEXT) | instid1(VALU_DEP_2)
	v_cndmask_b32_e64 v23, 0, 0x3ff00000, s0
	v_add_f64_e32 v[60:61], v[60:61], v[62:63]
	s_delay_alu instid0(VALU_DEP_2) | instskip(SKIP_2) | instid1(VALU_DEP_3)
	v_add_f64_e64 v[62:63], v[66:67], -v[22:23]
	v_add_co_ci_u32_e64 v23, null, 0, v72, s0
	v_cmp_class_f64_e64 s0, v[46:47], 0x1f8
	v_add_f64_e32 v[64:65], v[62:63], v[60:61]
	s_delay_alu instid0(VALU_DEP_1) | instskip(NEXT) | instid1(VALU_DEP_1)
	v_add_f64_e64 v[62:63], v[64:65], -v[62:63]
	v_add_f64_e64 v[60:61], v[60:61], -v[62:63]
	v_mul_f64_e32 v[62:63], s[68:69], v[64:65]
	s_delay_alu instid0(VALU_DEP_1) | instskip(NEXT) | instid1(VALU_DEP_1)
	v_fma_f64 v[66:67], v[64:65], s[68:69], -v[62:63]
	v_fma_f64 v[64:65], v[64:65], s[16:17], v[66:67]
	s_delay_alu instid0(VALU_DEP_1) | instskip(NEXT) | instid1(VALU_DEP_1)
	v_fma_f64 v[60:61], v[60:61], s[68:69], v[64:65]
	v_add_f64_e32 v[64:65], v[62:63], v[60:61]
	s_delay_alu instid0(VALU_DEP_1) | instskip(SKIP_2) | instid1(VALU_DEP_2)
	v_add_f64_e64 v[62:63], v[64:65], -v[62:63]
	s_wait_alu 0xfffd
	v_dual_cndmask_b32 v67, v65, v71 :: v_dual_cndmask_b32 v66, v64, v70
	v_add_f64_e64 v[60:61], v[60:61], -v[62:63]
	s_delay_alu instid0(VALU_DEP_2) | instskip(NEXT) | instid1(VALU_DEP_2)
	v_mul_f64_e32 v[62:63], v[66:67], v[66:67]
	v_dual_cndmask_b32 v61, v61, v69 :: v_dual_cndmask_b32 v60, v60, v68
	s_delay_alu instid0(VALU_DEP_2) | instskip(SKIP_1) | instid1(VALU_DEP_3)
	v_mul_f64_e32 v[64:65], 0.5, v[62:63]
	v_mul_f64_e64 v[74:75], v[66:67], -v[62:63]
	v_mul_f64_e32 v[76:77], 0.5, v[60:61]
	s_delay_alu instid0(VALU_DEP_3) | instskip(NEXT) | instid1(VALU_DEP_1)
	v_add_f64_e64 v[68:69], -v[64:65], 1.0
	v_add_f64_e64 v[70:71], -v[68:69], 1.0
	s_delay_alu instid0(VALU_DEP_1) | instskip(SKIP_1) | instid1(VALU_DEP_2)
	v_add_f64_e64 v[64:65], v[70:71], -v[64:65]
	v_fma_f64 v[70:71], v[62:63], s[92:93], s[90:91]
	v_fma_f64 v[64:65], v[66:67], -v[60:61], v[64:65]
	s_delay_alu instid0(VALU_DEP_2) | instskip(NEXT) | instid1(VALU_DEP_1)
	v_fma_f64 v[70:71], v[62:63], v[70:71], s[94:95]
	v_fma_f64 v[70:71], v[62:63], v[70:71], s[96:97]
	s_delay_alu instid0(VALU_DEP_1) | instskip(NEXT) | instid1(VALU_DEP_1)
	v_fma_f64 v[70:71], v[62:63], v[70:71], s[98:99]
	v_fma_f64 v[70:71], v[74:75], v[70:71], v[76:77]
	s_delay_alu instid0(VALU_DEP_1) | instskip(SKIP_2) | instid1(VALU_DEP_2)
	v_fma_f64 v[60:61], v[62:63], v[70:71], -v[60:61]
	v_fma_f64 v[70:71], v[62:63], s[80:81], s[78:79]
	s_wait_alu 0xfffe
	v_fma_f64 v[60:61], v[74:75], s[12:13], v[60:61]
	s_delay_alu instid0(VALU_DEP_2) | instskip(NEXT) | instid1(VALU_DEP_2)
	v_fma_f64 v[70:71], v[62:63], v[70:71], s[82:83]
	v_add_f64_e64 v[60:61], v[66:67], -v[60:61]
	s_delay_alu instid0(VALU_DEP_2) | instskip(NEXT) | instid1(VALU_DEP_1)
	v_fma_f64 v[70:71], v[62:63], v[70:71], s[84:85]
	v_fma_f64 v[70:71], v[62:63], v[70:71], s[86:87]
	s_delay_alu instid0(VALU_DEP_1) | instskip(SKIP_1) | instid1(VALU_DEP_1)
	v_fma_f64 v[70:71], v[62:63], v[70:71], s[88:89]
	v_mul_f64_e32 v[62:63], v[62:63], v[62:63]
	v_fma_f64 v[62:63], v[62:63], v[70:71], v[64:65]
	s_delay_alu instid0(VALU_DEP_1) | instskip(SKIP_1) | instid1(VALU_DEP_1)
	v_add_f64_e32 v[62:63], v[68:69], v[62:63]
	v_cndmask_b32_e32 v23, v23, v73, vcc_lo
	v_and_b32_e32 v64, 1, v23
	s_delay_alu instid0(VALU_DEP_1) | instskip(SKIP_4) | instid1(VALU_DEP_3)
	v_cmp_eq_u32_e32 vcc_lo, 0, v64
	v_xor_b32_e32 v64, 0x80000000, v61
	s_wait_alu 0xfffd
	v_dual_cndmask_b32 v66, v62, v60 :: v_dual_lshlrev_b32 v23, 30, v23
	v_cndmask_b32_e32 v65, v60, v62, vcc_lo
	v_dual_cndmask_b32 v61, v63, v61 :: v_dual_cndmask_b32 v64, v64, v63
	v_mul_f64_e32 v[62:63], 0x40620000, v[48:49]
	s_delay_alu instid0(VALU_DEP_4) | instskip(SKIP_2) | instid1(VALU_DEP_3)
	v_xor_b32_e32 v60, v23, v47
	v_mul_f64_e32 v[48:49], 0, v[48:49]
	v_and_b32_e32 v23, 0x80000000, v23
	v_and_b32_e32 v60, 0x80000000, v60
	s_delay_alu instid0(VALU_DEP_2) | instskip(NEXT) | instid1(VALU_DEP_2)
	v_xor_b32_e32 v23, v64, v23
	v_xor_b32_e32 v46, v61, v60
	v_mul_f64_e32 v[60:61], 0x40280000, v[42:43]
	v_fma_f64 v[62:63], v[50:51], 0, v[62:63]
	v_fma_f64 v[68:69], 0x40620000, v[50:51], -v[48:49]
	s_wait_alu 0xf1ff
	v_cndmask_b32_e64 v50, 0, v65, s0
	v_cndmask_b32_e64 v48, 0, v66, s0
	;; [unrolled: 1-line block ×4, first 2 shown]
	v_fma_f64 v[64:65], v[40:41], 0, -v[60:61]
	v_add_f64_e64 v[74:75], -v[62:63], 0
	v_mul_f64_e32 v[62:63], 0x40280000, v[40:41]
	s_delay_alu instid0(VALU_DEP_3) | instskip(NEXT) | instid1(VALU_DEP_3)
	v_fma_f64 v[64:65], 0x3f300000, v[64:65], 1.0
	v_mul_f64_e32 v[76:77], v[74:75], v[74:75]
	s_delay_alu instid0(VALU_DEP_2) | instskip(NEXT) | instid1(VALU_DEP_1)
	v_mul_f64_e32 v[64:65], v[64:65], v[64:65]
	v_mul_f64_e32 v[64:65], v[64:65], v[64:65]
	s_delay_alu instid0(VALU_DEP_1) | instskip(NEXT) | instid1(VALU_DEP_1)
	v_mul_f64_e32 v[64:65], v[64:65], v[64:65]
	v_mul_f64_e32 v[64:65], v[64:65], v[64:65]
	s_delay_alu instid0(VALU_DEP_1) | instskip(NEXT) | instid1(VALU_DEP_1)
	;; [unrolled: 3-line block ×5, first 2 shown]
	v_mul_f64_e32 v[64:65], v[64:65], v[64:65]
	v_mul_f64_e32 v[64:65], v[64:65], v[64:65]
	s_delay_alu instid0(VALU_DEP_1) | instskip(SKIP_1) | instid1(VALU_DEP_2)
	v_mul_f64_e32 v[66:67], v[64:65], v[48:49]
	v_mul_f64_e32 v[48:49], 0, v[48:49]
	v_fma_f64 v[70:71], v[50:51], 0, v[66:67]
	s_delay_alu instid0(VALU_DEP_2)
	v_fma_f64 v[72:73], v[64:65], v[50:51], -v[48:49]
	v_mul_f64_e32 v[66:67], 0, v[40:41]
	v_mov_b32_e32 v48, 0
	v_dual_mov_b32 v50, 0 :: v_dual_mov_b32 v49, 0
	v_mov_b32_e32 v51, 0
	v_mul_f64_e32 v[78:79], 0, v[70:71]
	v_mul_f64_e32 v[80:81], 0, v[72:73]
.LBB0_100:                              ;   Parent Loop BB0_34 Depth=1
                                        ;     Parent Loop BB0_88 Depth=2
                                        ; =>    This Inner Loop Header: Depth=3
	s_getpc_b64 s[18:19]
	s_wait_alu 0xfffe
	s_sext_i32_i16 s19, s19
	s_add_co_u32 s18, s18, __const._Z14fast_nuclear_W9RSComplex.neg_1n@rel32@lo+12
	s_wait_alu 0xfffe
	s_add_co_ci_u32 s19, s19, __const._Z14fast_nuclear_W9RSComplex.neg_1n@rel32@hi+24
	s_getpc_b64 s[70:71]
	s_wait_alu 0xfffe
	s_sext_i32_i16 s71, s71
	s_add_co_u32 s70, s70, __const._Z14fast_nuclear_W9RSComplex.denominator_left@rel32@lo+12
	s_wait_alu 0xfffe
	s_add_co_ci_u32 s71, s71, __const._Z14fast_nuclear_W9RSComplex.denominator_left@rel32@hi+24
	s_add_nc_u64 s[18:19], s[18:19], s[22:23]
	s_wait_alu 0xfffe
	s_add_nc_u64 s[70:71], s[70:71], s[22:23]
	s_load_b64 s[18:19], s[18:19], 0x0
	s_load_b64 s[70:71], s[70:71], 0x0
	s_wait_kmcnt 0x0
	s_delay_alu instid0(VALU_DEP_2) | instskip(SKIP_1) | instid1(VALU_DEP_3)
	v_fma_f64 v[89:90], v[72:73], s[18:19], -v[78:79]
	v_add_f64_e64 v[91:92], s[70:71], -v[68:69]
	v_fma_f64 v[95:96], v[70:71], s[18:19], v[80:81]
	s_getpc_b64 s[18:19]
	s_wait_alu 0xfffe
	s_sext_i32_i16 s19, s19
	s_add_co_u32 s18, s18, __const._Z14fast_nuclear_W9RSComplex.an@rel32@lo+12
	s_wait_alu 0xfffe
	s_add_co_ci_u32 s19, s19, __const._Z14fast_nuclear_W9RSComplex.an@rel32@hi+24
	s_wait_alu 0xfffe
	s_add_nc_u64 s[18:19], s[18:19], s[22:23]
	s_add_nc_u64 s[22:23], s[22:23], 8
	s_load_b64 s[18:19], s[18:19], 0x0
	s_cmp_eq_u32 s22, 0x50
	s_delay_alu instid0(VALU_DEP_3) | instskip(NEXT) | instid1(VALU_DEP_1)
	v_add_f64_e32 v[89:90], -1.0, v[89:90]
	v_mul_f64_e32 v[93:94], v[91:92], v[89:90]
	v_mul_f64_e32 v[89:90], v[74:75], v[89:90]
	s_delay_alu instid0(VALU_DEP_2) | instskip(NEXT) | instid1(VALU_DEP_2)
	v_fma_f64 v[93:94], v[74:75], v[95:96], v[93:94]
	v_fma_f64 v[89:90], v[91:92], v[95:96], -v[89:90]
	v_fma_f64 v[91:92], v[91:92], v[91:92], v[76:77]
	s_delay_alu instid0(VALU_DEP_1) | instskip(NEXT) | instid1(VALU_DEP_1)
	v_div_scale_f64 v[95:96], null, v[91:92], v[91:92], v[93:94]
	v_rcp_f64_e32 v[97:98], v[95:96]
	s_delay_alu instid0(TRANS32_DEP_1) | instskip(NEXT) | instid1(VALU_DEP_1)
	v_fma_f64 v[99:100], -v[95:96], v[97:98], 1.0
	v_fma_f64 v[97:98], v[97:98], v[99:100], v[97:98]
	s_delay_alu instid0(VALU_DEP_1) | instskip(NEXT) | instid1(VALU_DEP_1)
	v_fma_f64 v[99:100], -v[95:96], v[97:98], 1.0
	v_fma_f64 v[97:98], v[97:98], v[99:100], v[97:98]
	v_div_scale_f64 v[99:100], vcc_lo, v[93:94], v[91:92], v[93:94]
	s_delay_alu instid0(VALU_DEP_1) | instskip(NEXT) | instid1(VALU_DEP_1)
	v_mul_f64_e32 v[101:102], v[99:100], v[97:98]
	v_fma_f64 v[95:96], -v[95:96], v[101:102], v[99:100]
	s_wait_alu 0xfffd
	s_delay_alu instid0(VALU_DEP_1) | instskip(SKIP_1) | instid1(VALU_DEP_1)
	v_div_fmas_f64 v[95:96], v[95:96], v[97:98], v[101:102]
	v_div_scale_f64 v[97:98], null, v[91:92], v[91:92], v[89:90]
	v_rcp_f64_e32 v[99:100], v[97:98]
	s_delay_alu instid0(TRANS32_DEP_1) | instskip(NEXT) | instid1(VALU_DEP_1)
	v_fma_f64 v[101:102], -v[97:98], v[99:100], 1.0
	v_fma_f64 v[99:100], v[99:100], v[101:102], v[99:100]
	s_delay_alu instid0(VALU_DEP_1) | instskip(NEXT) | instid1(VALU_DEP_1)
	v_fma_f64 v[101:102], -v[97:98], v[99:100], 1.0
	v_fma_f64 v[99:100], v[99:100], v[101:102], v[99:100]
	v_div_scale_f64 v[101:102], vcc_lo, v[89:90], v[91:92], v[89:90]
	s_delay_alu instid0(VALU_DEP_1) | instskip(NEXT) | instid1(VALU_DEP_1)
	v_mul_f64_e32 v[103:104], v[101:102], v[99:100]
	v_fma_f64 v[97:98], -v[97:98], v[103:104], v[101:102]
	s_wait_alu 0xfffd
	s_delay_alu instid0(VALU_DEP_1) | instskip(NEXT) | instid1(VALU_DEP_1)
	v_div_fmas_f64 v[97:98], v[97:98], v[99:100], v[103:104]
	v_div_fixup_f64 v[89:90], v[97:98], v[91:92], v[89:90]
	v_div_fixup_f64 v[91:92], v[95:96], v[91:92], v[93:94]
	s_delay_alu instid0(VALU_DEP_2) | instskip(SKIP_2) | instid1(VALU_DEP_2)
	v_mul_f64_e32 v[93:94], 0, v[89:90]
	s_wait_kmcnt 0x0
	v_mul_f64_e32 v[89:90], s[18:19], v[89:90]
	v_fma_f64 v[93:94], s[18:19], v[91:92], -v[93:94]
	s_delay_alu instid0(VALU_DEP_2) | instskip(NEXT) | instid1(VALU_DEP_2)
	v_fma_f64 v[89:90], v[91:92], 0, v[89:90]
	v_add_f64_e32 v[48:49], v[48:49], v[93:94]
	s_delay_alu instid0(VALU_DEP_2)
	v_add_f64_e32 v[50:51], v[50:51], v[89:90]
	s_cbranch_scc0 .LBB0_100
; %bb.101:                              ;   in Loop: Header=BB0_88 Depth=2
	v_mul_f64_e32 v[68:69], v[52:53], v[52:53]
	v_mul_f64_e32 v[76:77], 0.5, v[54:55]
	v_mul_f64_e32 v[89:90], 0.5, v[58:59]
	s_mov_b32 s12, s88
	v_add_f64_e64 v[44:45], v[62:63], -v[44:45]
	s_mov_b32 s6, 0x3a29c77a
	s_mov_b32 s7, 0x40544f92
	s_delay_alu instid0(VALU_DEP_4) | instskip(SKIP_1) | instid1(VALU_DEP_2)
	v_mul_f64_e32 v[70:71], 0.5, v[68:69]
	v_mul_f64_e64 v[78:79], v[52:53], -v[68:69]
	v_add_f64_e64 v[72:73], -v[70:71], 1.0
	s_delay_alu instid0(VALU_DEP_1) | instskip(NEXT) | instid1(VALU_DEP_1)
	v_add_f64_e64 v[74:75], -v[72:73], 1.0
	v_add_f64_e64 v[70:71], v[74:75], -v[70:71]
	v_fma_f64 v[74:75], v[68:69], s[92:93], s[90:91]
	s_delay_alu instid0(VALU_DEP_2) | instskip(NEXT) | instid1(VALU_DEP_2)
	v_fma_f64 v[70:71], v[52:53], -v[54:55], v[70:71]
	v_fma_f64 v[74:75], v[68:69], v[74:75], s[94:95]
	s_delay_alu instid0(VALU_DEP_1) | instskip(NEXT) | instid1(VALU_DEP_1)
	v_fma_f64 v[74:75], v[68:69], v[74:75], s[96:97]
	v_fma_f64 v[74:75], v[68:69], v[74:75], s[98:99]
	s_delay_alu instid0(VALU_DEP_1) | instskip(NEXT) | instid1(VALU_DEP_1)
	v_fma_f64 v[74:75], v[78:79], v[74:75], v[76:77]
	v_fma_f64 v[54:55], v[68:69], v[74:75], -v[54:55]
	v_fma_f64 v[74:75], v[68:69], s[80:81], s[78:79]
	s_wait_alu 0xfffe
	s_delay_alu instid0(VALU_DEP_2) | instskip(NEXT) | instid1(VALU_DEP_2)
	v_fma_f64 v[54:55], v[78:79], s[12:13], v[54:55]
	v_fma_f64 v[74:75], v[68:69], v[74:75], s[82:83]
	s_delay_alu instid0(VALU_DEP_2) | instskip(NEXT) | instid1(VALU_DEP_2)
	v_add_f64_e64 v[52:53], v[52:53], -v[54:55]
	v_fma_f64 v[74:75], v[68:69], v[74:75], s[84:85]
	s_delay_alu instid0(VALU_DEP_2) | instskip(NEXT) | instid1(VALU_DEP_2)
	v_xor_b32_e32 v53, 0x80000000, v53
	v_fma_f64 v[74:75], v[68:69], v[74:75], s[86:87]
	s_delay_alu instid0(VALU_DEP_1) | instskip(SKIP_1) | instid1(VALU_DEP_1)
	v_fma_f64 v[74:75], v[68:69], v[74:75], s[88:89]
	v_mul_f64_e32 v[68:69], v[68:69], v[68:69]
	v_fma_f64 v[68:69], v[68:69], v[74:75], v[70:71]
	v_mul_f64_e32 v[70:71], v[56:57], v[56:57]
	s_delay_alu instid0(VALU_DEP_2) | instskip(NEXT) | instid1(VALU_DEP_2)
	v_add_f64_e32 v[54:55], v[72:73], v[68:69]
	v_mul_f64_e32 v[74:75], 0.5, v[70:71]
	v_mul_f64_e64 v[91:92], v[56:57], -v[70:71]
	s_delay_alu instid0(VALU_DEP_2) | instskip(NEXT) | instid1(VALU_DEP_1)
	v_add_f64_e64 v[76:77], -v[74:75], 1.0
	v_add_f64_e64 v[80:81], -v[76:77], 1.0
	s_delay_alu instid0(VALU_DEP_1) | instskip(SKIP_1) | instid1(VALU_DEP_2)
	v_add_f64_e64 v[74:75], v[80:81], -v[74:75]
	v_fma_f64 v[80:81], v[70:71], s[92:93], s[90:91]
	v_fma_f64 v[74:75], v[56:57], -v[58:59], v[74:75]
	s_delay_alu instid0(VALU_DEP_2) | instskip(NEXT) | instid1(VALU_DEP_1)
	v_fma_f64 v[80:81], v[70:71], v[80:81], s[94:95]
	v_fma_f64 v[80:81], v[70:71], v[80:81], s[96:97]
	s_delay_alu instid0(VALU_DEP_1) | instskip(NEXT) | instid1(VALU_DEP_1)
	v_fma_f64 v[80:81], v[70:71], v[80:81], s[98:99]
	v_fma_f64 v[80:81], v[91:92], v[80:81], v[89:90]
	s_delay_alu instid0(VALU_DEP_1) | instskip(SKIP_1) | instid1(VALU_DEP_2)
	v_fma_f64 v[58:59], v[70:71], v[80:81], -v[58:59]
	v_fma_f64 v[80:81], v[70:71], s[80:81], s[78:79]
	v_fma_f64 v[58:59], v[91:92], s[12:13], v[58:59]
	s_delay_alu instid0(VALU_DEP_2) | instskip(NEXT) | instid1(VALU_DEP_2)
	v_fma_f64 v[80:81], v[70:71], v[80:81], s[82:83]
	v_add_f64_e64 v[56:57], v[56:57], -v[58:59]
	s_delay_alu instid0(VALU_DEP_2) | instskip(NEXT) | instid1(VALU_DEP_1)
	v_fma_f64 v[80:81], v[70:71], v[80:81], s[84:85]
	v_fma_f64 v[80:81], v[70:71], v[80:81], s[86:87]
	s_delay_alu instid0(VALU_DEP_1) | instskip(SKIP_1) | instid1(VALU_DEP_1)
	v_fma_f64 v[80:81], v[70:71], v[80:81], s[88:89]
	v_mul_f64_e32 v[70:71], v[70:71], v[70:71]
	v_fma_f64 v[70:71], v[70:71], v[80:81], v[74:75]
	s_delay_alu instid0(VALU_DEP_1) | instskip(SKIP_1) | instid1(VALU_DEP_1)
	v_add_f64_e32 v[70:71], v[76:77], v[70:71]
	v_and_b32_e32 v23, 1, v88
	v_cmp_eq_u32_e32 vcc_lo, 0, v23
	s_wait_alu 0xfffd
	s_delay_alu instid0(VALU_DEP_3) | instskip(SKIP_2) | instid1(VALU_DEP_2)
	v_cndmask_b32_e32 v23, v70, v56, vcc_lo
	v_lshlrev_b32_e32 v56, 30, v88
	v_cndmask_b32_e32 v46, v71, v57, vcc_lo
	v_xor_b32_e32 v47, v56, v47
	v_and_b32_e32 v56, 1, v87
	s_delay_alu instid0(VALU_DEP_2) | instskip(NEXT) | instid1(VALU_DEP_2)
	v_and_b32_e32 v47, 0x80000000, v47
	v_cmp_eq_u32_e32 vcc_lo, 0, v56
	s_delay_alu instid0(VALU_DEP_2)
	v_xor_b32_e32 v47, v46, v47
	s_wait_alu 0xfffd
	v_cndmask_b32_e32 v52, v52, v54, vcc_lo
	v_lshlrev_b32_e32 v46, 30, v87
	v_cndmask_b32_e32 v53, v53, v55, vcc_lo
	v_cndmask_b32_e64 v47, 0x7ff80000, v47, s0
	s_delay_alu instid0(VALU_DEP_4) | instskip(NEXT) | instid1(VALU_DEP_4)
	v_cndmask_b32_e64 v52, 0, v52, s0
	v_and_b32_e32 v46, 0x80000000, v46
	s_delay_alu instid0(VALU_DEP_1) | instskip(SKIP_1) | instid1(VALU_DEP_2)
	v_xor_b32_e32 v53, v53, v46
	v_cndmask_b32_e64 v46, 0, v23, s0
	v_cndmask_b32_e64 v53, 0x7ff80000, v53, s0
	s_delay_alu instid0(VALU_DEP_2) | instskip(NEXT) | instid1(VALU_DEP_2)
	v_mul_f64_e32 v[54:55], v[64:65], v[46:47]
	v_mul_f64_e32 v[56:57], v[64:65], v[52:53]
	s_delay_alu instid0(VALU_DEP_2) | instskip(SKIP_1) | instid1(VALU_DEP_3)
	v_fma_f64 v[52:53], v[52:53], 0, v[54:55]
	v_add_f64_e32 v[54:55], v[66:67], v[60:61]
	v_fma_f64 v[46:47], v[46:47], 0, -v[56:57]
	s_delay_alu instid0(VALU_DEP_3) | instskip(NEXT) | instid1(VALU_DEP_3)
	v_add_f64_e64 v[52:53], -v[52:53], 0
	v_mul_f64_e32 v[58:59], v[54:55], v[54:55]
	s_delay_alu instid0(VALU_DEP_3) | instskip(NEXT) | instid1(VALU_DEP_2)
	v_add_f64_e32 v[46:47], 1.0, v[46:47]
	v_fma_f64 v[58:59], v[44:45], v[44:45], v[58:59]
	s_delay_alu instid0(VALU_DEP_2) | instskip(SKIP_1) | instid1(VALU_DEP_2)
	v_fma_f64 v[56:57], v[52:53], 0, v[46:47]
	v_fma_f64 v[46:47], v[46:47], 0, -v[52:53]
	v_mul_f64_e32 v[52:53], v[54:55], v[56:57]
	s_delay_alu instid0(VALU_DEP_1) | instskip(SKIP_1) | instid1(VALU_DEP_2)
	v_fma_f64 v[52:53], v[44:45], v[46:47], v[52:53]
	v_mul_f64_e32 v[46:47], v[54:55], v[46:47]
	v_div_scale_f64 v[54:55], null, v[58:59], v[58:59], v[52:53]
	s_delay_alu instid0(VALU_DEP_2) | instskip(NEXT) | instid1(VALU_DEP_2)
	v_fma_f64 v[44:45], v[44:45], v[56:57], -v[46:47]
	v_rcp_f64_e32 v[46:47], v[54:55]
	s_delay_alu instid0(TRANS32_DEP_1) | instskip(NEXT) | instid1(VALU_DEP_1)
	v_fma_f64 v[56:57], -v[54:55], v[46:47], 1.0
	v_fma_f64 v[46:47], v[46:47], v[56:57], v[46:47]
	v_mul_f64_e32 v[56:57], v[42:43], v[48:49]
	v_mul_f64_e32 v[42:43], v[42:43], v[50:51]
	s_delay_alu instid0(VALU_DEP_2) | instskip(NEXT) | instid1(VALU_DEP_4)
	v_fma_f64 v[50:51], v[40:41], v[50:51], v[56:57]
	v_fma_f64 v[56:57], -v[54:55], v[46:47], 1.0
	s_delay_alu instid0(VALU_DEP_3) | instskip(SKIP_1) | instid1(VALU_DEP_3)
	v_fma_f64 v[40:41], v[40:41], v[48:49], -v[42:43]
	v_div_scale_f64 v[48:49], null, v[58:59], v[58:59], v[44:45]
	v_fma_f64 v[46:47], v[46:47], v[56:57], v[46:47]
	v_div_scale_f64 v[56:57], vcc_lo, v[52:53], v[58:59], v[52:53]
	s_delay_alu instid0(VALU_DEP_1) | instskip(NEXT) | instid1(VALU_DEP_1)
	v_mul_f64_e32 v[42:43], v[56:57], v[46:47]
	v_fma_f64 v[54:55], -v[54:55], v[42:43], v[56:57]
	v_rcp_f64_e32 v[56:57], v[48:49]
	s_wait_alu 0xfffd
	s_delay_alu instid0(VALU_DEP_1) | instskip(SKIP_1) | instid1(TRANS32_DEP_1)
	v_div_fmas_f64 v[42:43], v[54:55], v[46:47], v[42:43]
	v_div_scale_f64 v[54:55], vcc_lo, v[44:45], v[58:59], v[44:45]
	v_fma_f64 v[60:61], -v[48:49], v[56:57], 1.0
	s_delay_alu instid0(VALU_DEP_3) | instskip(NEXT) | instid1(VALU_DEP_2)
	v_div_fixup_f64 v[42:43], v[42:43], v[58:59], v[52:53]
	v_fma_f64 v[56:57], v[56:57], v[60:61], v[56:57]
	s_delay_alu instid0(VALU_DEP_1) | instskip(NEXT) | instid1(VALU_DEP_1)
	v_fma_f64 v[46:47], -v[48:49], v[56:57], 1.0
	v_fma_f64 v[46:47], v[56:57], v[46:47], v[56:57]
	s_delay_alu instid0(VALU_DEP_1) | instskip(NEXT) | instid1(VALU_DEP_1)
	v_mul_f64_e32 v[56:57], v[54:55], v[46:47]
	v_fma_f64 v[48:49], -v[48:49], v[56:57], v[54:55]
	v_mul_f64_e32 v[54:55], s[6:7], v[50:51]
	s_wait_alu 0xfffd
	s_delay_alu instid0(VALU_DEP_2) | instskip(SKIP_1) | instid1(VALU_DEP_3)
	v_div_fmas_f64 v[46:47], v[48:49], v[46:47], v[56:57]
	v_mul_f64_e32 v[48:49], 0, v[50:51]
	v_fma_f64 v[50:51], v[40:41], 0, -v[54:55]
	s_delay_alu instid0(VALU_DEP_3) | instskip(NEXT) | instid1(VALU_DEP_3)
	v_div_fixup_f64 v[46:47], v[46:47], v[58:59], v[44:45]
	v_fma_f64 v[40:41], v[40:41], s[6:7], v[48:49]
	s_delay_alu instid0(VALU_DEP_3) | instskip(NEXT) | instid1(VALU_DEP_2)
	v_add_f64_e32 v[44:45], v[42:43], v[50:51]
	v_add_f64_e32 v[46:47], v[46:47], v[40:41]
	s_branch .LBB0_87
.LBB0_102:
	s_or_b32 exec_lo, exec_lo, s104
	v_readlane_b32 s5, v105, 8
	s_mov_b64 s[10:11], s[26:27]
.LBB0_103:
	s_wait_alu 0xfffe
	s_or_b32 exec_lo, exec_lo, s5
	v_max_num_f64_e32 v[0:1], v[30:31], v[30:31]
	s_mov_b32 s0, -1
	s_mov_b32 s1, 0xffefffff
	s_wait_alu 0xfffe
	s_delay_alu instid0(VALU_DEP_1) | instskip(NEXT) | instid1(VALU_DEP_1)
	v_max_num_f64_e32 v[0:1], s[0:1], v[0:1]
	v_cmp_gt_f64_e32 vcc_lo, v[28:29], v[0:1]
	s_wait_alu 0xfffd
	v_dual_cndmask_b32 v1, v1, v29 :: v_dual_cndmask_b32 v0, v0, v28
	v_cndmask_b32_e64 v2, 1, 2, vcc_lo
	s_delay_alu instid0(VALU_DEP_2) | instskip(SKIP_1) | instid1(VALU_DEP_1)
	v_cmp_gt_f64_e64 s0, v[24:25], v[0:1]
	s_wait_alu 0xf1ff
	v_cndmask_b32_e64 v1, v1, v25, s0
	v_cndmask_b32_e64 v0, v0, v24, s0
	v_cndmask_b32_e64 v4, v2, 3, s0
	v_lshlrev_b64_e32 v[2:3], 2, v[16:17]
	s_delay_alu instid0(VALU_DEP_3) | instskip(SKIP_1) | instid1(VALU_DEP_3)
	v_cmp_ngt_f64_e32 vcc_lo, v[20:21], v[0:1]
	s_wait_alu 0xfffd
	v_cndmask_b32_e32 v4, 4, v4, vcc_lo
	s_delay_alu instid0(VALU_DEP_3)
	v_add_co_u32 v0, vcc_lo, s10, v2
	s_wait_alu 0xfffd
	v_add_co_ci_u32_e64 v1, null, s11, v3, vcc_lo
	global_store_b32 v[0:1], v4, off
.LBB0_104:
	s_nop 0
	s_sendmsg sendmsg(MSG_DEALLOC_VGPRS)
	s_endpgm
	.section	.rodata,"a",@progbits
	.p2align	6, 0x0
	.amdhsa_kernel _Z6lookupPKiPKdS0_PiS0_S2_PK6WindowPK4Poleiiiiii
		.amdhsa_group_segment_fixed_size 65536
		.amdhsa_private_segment_fixed_size 80
		.amdhsa_kernarg_size 344
		.amdhsa_user_sgpr_count 4
		.amdhsa_user_sgpr_dispatch_ptr 1
		.amdhsa_user_sgpr_queue_ptr 0
		.amdhsa_user_sgpr_kernarg_segment_ptr 1
		.amdhsa_user_sgpr_dispatch_id 0
		.amdhsa_user_sgpr_private_segment_size 0
		.amdhsa_wavefront_size32 1
		.amdhsa_uses_dynamic_stack 0
		.amdhsa_enable_private_segment 1
		.amdhsa_system_sgpr_workgroup_id_x 1
		.amdhsa_system_sgpr_workgroup_id_y 0
		.amdhsa_system_sgpr_workgroup_id_z 0
		.amdhsa_system_sgpr_workgroup_info 0
		.amdhsa_system_vgpr_workitem_id 2
		.amdhsa_next_free_vgpr 106
		.amdhsa_next_free_sgpr 105
		.amdhsa_reserve_vcc 1
		.amdhsa_float_round_mode_32 0
		.amdhsa_float_round_mode_16_64 0
		.amdhsa_float_denorm_mode_32 3
		.amdhsa_float_denorm_mode_16_64 3
		.amdhsa_fp16_overflow 0
		.amdhsa_workgroup_processor_mode 1
		.amdhsa_memory_ordered 1
		.amdhsa_forward_progress 1
		.amdhsa_inst_pref_size 139
		.amdhsa_round_robin_scheduling 0
		.amdhsa_exception_fp_ieee_invalid_op 0
		.amdhsa_exception_fp_denorm_src 0
		.amdhsa_exception_fp_ieee_div_zero 0
		.amdhsa_exception_fp_ieee_overflow 0
		.amdhsa_exception_fp_ieee_underflow 0
		.amdhsa_exception_fp_ieee_inexact 0
		.amdhsa_exception_int_div_zero 0
	.end_amdhsa_kernel
	.text
.Lfunc_end0:
	.size	_Z6lookupPKiPKdS0_PiS0_S2_PK6WindowPK4Poleiiiiii, .Lfunc_end0-_Z6lookupPKiPKdS0_PiS0_S2_PK6WindowPK4Poleiiiiii
                                        ; -- End function
	.set _Z6lookupPKiPKdS0_PiS0_S2_PK6WindowPK4Poleiiiiii.num_vgpr, 106
	.set _Z6lookupPKiPKdS0_PiS0_S2_PK6WindowPK4Poleiiiiii.num_agpr, 0
	.set _Z6lookupPKiPKdS0_PiS0_S2_PK6WindowPK4Poleiiiiii.numbered_sgpr, 105
	.set _Z6lookupPKiPKdS0_PiS0_S2_PK6WindowPK4Poleiiiiii.num_named_barrier, 0
	.set _Z6lookupPKiPKdS0_PiS0_S2_PK6WindowPK4Poleiiiiii.private_seg_size, 80
	.set _Z6lookupPKiPKdS0_PiS0_S2_PK6WindowPK4Poleiiiiii.uses_vcc, 1
	.set _Z6lookupPKiPKdS0_PiS0_S2_PK6WindowPK4Poleiiiiii.uses_flat_scratch, 0
	.set _Z6lookupPKiPKdS0_PiS0_S2_PK6WindowPK4Poleiiiiii.has_dyn_sized_stack, 0
	.set _Z6lookupPKiPKdS0_PiS0_S2_PK6WindowPK4Poleiiiiii.has_recursion, 0
	.set _Z6lookupPKiPKdS0_PiS0_S2_PK6WindowPK4Poleiiiiii.has_indirect_call, 0
	.section	.AMDGPU.csdata,"",@progbits
; Kernel info:
; codeLenInByte = 17764
; TotalNumSgprs: 107
; NumVgprs: 106
; ScratchSize: 80
; MemoryBound: 1
; FloatMode: 240
; IeeeMode: 1
; LDSByteSize: 65536 bytes/workgroup (compile time only)
; SGPRBlocks: 0
; VGPRBlocks: 13
; NumSGPRsForWavesPerEU: 107
; NumVGPRsForWavesPerEU: 106
; Occupancy: 12
; WaveLimiterHint : 1
; COMPUTE_PGM_RSRC2:SCRATCH_EN: 1
; COMPUTE_PGM_RSRC2:USER_SGPR: 4
; COMPUTE_PGM_RSRC2:TRAP_HANDLER: 0
; COMPUTE_PGM_RSRC2:TGID_X_EN: 1
; COMPUTE_PGM_RSRC2:TGID_Y_EN: 0
; COMPUTE_PGM_RSRC2:TGID_Z_EN: 0
; COMPUTE_PGM_RSRC2:TIDIG_COMP_CNT: 2
	.text
	.p2alignl 7, 3214868480
	.fill 96, 4, 3214868480
	.section	.AMDGPU.gpr_maximums,"",@progbits
	.set amdgpu.max_num_vgpr, 0
	.set amdgpu.max_num_agpr, 0
	.set amdgpu.max_num_sgpr, 0
	.text
	.type	__const._Z14fast_nuclear_W9RSComplex.an,@object ; @__const._Z14fast_nuclear_W9RSComplex.an
	.section	.rodata,"a",@progbits
	.p2align	4, 0x0
__const._Z14fast_nuclear_W9RSComplex.an:
	.quad	0x3fd1a75da77b03ac              ; double 0.27584019999999998
	.quad	0x3fccbed740c4156e              ; double 0.224574
	;; [unrolled: 1-line block ×9, first 2 shown]
	.quad	0x3f346e6a1e8a624d              ; double 3.1175700000000002E-4
	.size	__const._Z14fast_nuclear_W9RSComplex.an, 80

	.type	__const._Z14fast_nuclear_W9RSComplex.neg_1n,@object ; @__const._Z14fast_nuclear_W9RSComplex.neg_1n
	.p2align	4, 0x0
__const._Z14fast_nuclear_W9RSComplex.neg_1n:
	.quad	0xbff0000000000000              ; double -1
	.quad	0x3ff0000000000000              ; double 1
	.quad	0xbff0000000000000              ; double -1
	.quad	0x3ff0000000000000              ; double 1
	;; [unrolled: 2-line block ×5, first 2 shown]
	.size	__const._Z14fast_nuclear_W9RSComplex.neg_1n, 80

	.type	__const._Z14fast_nuclear_W9RSComplex.denominator_left,@object ; @__const._Z14fast_nuclear_W9RSComplex.denominator_left
	.p2align	4, 0x0
__const._Z14fast_nuclear_W9RSComplex.denominator_left:
	.quad	0x4023bd3cbc48f10b              ; double 9.8696040000000007
	.quad	0x4043bd3cddd6e04c              ; double 39.47842
	;; [unrolled: 1-line block ×10, first 2 shown]
	.size	__const._Z14fast_nuclear_W9RSComplex.denominator_left, 80

	.type	__hip_cuid_e0ed659f528be77b,@object ; @__hip_cuid_e0ed659f528be77b
	.section	.bss,"aw",@nobits
	.globl	__hip_cuid_e0ed659f528be77b
__hip_cuid_e0ed659f528be77b:
	.byte	0                               ; 0x0
	.size	__hip_cuid_e0ed659f528be77b, 1

	.ident	"AMD clang version 22.0.0git (https://github.com/RadeonOpenCompute/llvm-project roc-7.2.4 26084 f58b06dce1f9c15707c5f808fd002e18c2accf7e)"
	.section	".note.GNU-stack","",@progbits
	.addrsig
	.addrsig_sym __hip_cuid_e0ed659f528be77b
	.amdgpu_metadata
---
amdhsa.kernels:
  - .args:
      - .actual_access:  read_only
        .address_space:  global
        .offset:         0
        .size:           8
        .value_kind:     global_buffer
      - .actual_access:  read_only
        .address_space:  global
        .offset:         8
        .size:           8
        .value_kind:     global_buffer
      - .actual_access:  read_only
        .address_space:  global
        .offset:         16
        .size:           8
        .value_kind:     global_buffer
      - .actual_access:  write_only
        .address_space:  global
        .offset:         24
        .size:           8
        .value_kind:     global_buffer
      - .actual_access:  read_only
        .address_space:  global
        .offset:         32
        .size:           8
        .value_kind:     global_buffer
      - .actual_access:  read_only
        .address_space:  global
        .offset:         40
        .size:           8
        .value_kind:     global_buffer
      - .actual_access:  read_only
        .address_space:  global
        .offset:         48
        .size:           8
        .value_kind:     global_buffer
      - .actual_access:  read_only
        .address_space:  global
        .offset:         56
        .size:           8
        .value_kind:     global_buffer
      - .offset:         64
        .size:           4
        .value_kind:     by_value
      - .offset:         68
        .size:           4
        .value_kind:     by_value
      - .offset:         72
        .size:           4
        .value_kind:     by_value
      - .offset:         76
        .size:           4
        .value_kind:     by_value
      - .offset:         80
        .size:           4
        .value_kind:     by_value
      - .offset:         84
        .size:           4
        .value_kind:     by_value
      - .offset:         88
        .size:           4
        .value_kind:     hidden_block_count_x
      - .offset:         92
        .size:           4
        .value_kind:     hidden_block_count_y
      - .offset:         96
        .size:           4
        .value_kind:     hidden_block_count_z
      - .offset:         100
        .size:           2
        .value_kind:     hidden_group_size_x
      - .offset:         102
        .size:           2
        .value_kind:     hidden_group_size_y
      - .offset:         104
        .size:           2
        .value_kind:     hidden_group_size_z
      - .offset:         106
        .size:           2
        .value_kind:     hidden_remainder_x
      - .offset:         108
        .size:           2
        .value_kind:     hidden_remainder_y
      - .offset:         110
        .size:           2
        .value_kind:     hidden_remainder_z
      - .offset:         128
        .size:           8
        .value_kind:     hidden_global_offset_x
      - .offset:         136
        .size:           8
        .value_kind:     hidden_global_offset_y
      - .offset:         144
        .size:           8
        .value_kind:     hidden_global_offset_z
      - .offset:         152
        .size:           2
        .value_kind:     hidden_grid_dims
    .group_segment_fixed_size: 65536
    .kernarg_segment_align: 8
    .kernarg_segment_size: 344
    .language:       OpenCL C
    .language_version:
      - 2
      - 0
    .max_flat_workgroup_size: 1024
    .name:           _Z6lookupPKiPKdS0_PiS0_S2_PK6WindowPK4Poleiiiiii
    .private_segment_fixed_size: 80
    .sgpr_count:     107
    .sgpr_spill_count: 23
    .symbol:         _Z6lookupPKiPKdS0_PiS0_S2_PK6WindowPK4Poleiiiiii.kd
    .uniform_work_group_size: 1
    .uses_dynamic_stack: false
    .vgpr_count:     106
    .vgpr_spill_count: 0
    .wavefront_size: 32
    .workgroup_processor_mode: 1
amdhsa.target:   amdgcn-amd-amdhsa--gfx1201
amdhsa.version:
  - 1
  - 2
...

	.end_amdgpu_metadata
